;; amdgpu-corpus repo=pytorch/pytorch kind=compiled arch=gfx1100 opt=O3
	.text
	.amdgcn_target "amdgcn-amd-amdhsa--gfx1100"
	.amdhsa_code_object_version 6
	.section	.text._ZN2at6native12_GLOBAL__N_112renormRowsL1IdEEvPT_ll,"axG",@progbits,_ZN2at6native12_GLOBAL__N_112renormRowsL1IdEEvPT_ll,comdat
	.globl	_ZN2at6native12_GLOBAL__N_112renormRowsL1IdEEvPT_ll ; -- Begin function _ZN2at6native12_GLOBAL__N_112renormRowsL1IdEEvPT_ll
	.p2align	8
	.type	_ZN2at6native12_GLOBAL__N_112renormRowsL1IdEEvPT_ll,@function
_ZN2at6native12_GLOBAL__N_112renormRowsL1IdEEvPT_ll: ; @_ZN2at6native12_GLOBAL__N_112renormRowsL1IdEEvPT_ll
; %bb.0:
	s_load_b128 s[8:11], s[0:1], 0x0
	s_mov_b32 s4, s15
	s_mov_b32 s5, 0
	s_waitcnt lgkmcnt(0)
	v_cmp_ge_i64_e64 s2, s[4:5], s[10:11]
	s_delay_alu instid0(VALU_DEP_1)
	s_and_b32 vcc_lo, exec_lo, s2
	s_cbranch_vccnz .LBB0_36
; %bb.1:
	s_load_b64 s[6:7], s[0:1], 0x10
	v_dual_mov_b32 v1, 0 :: v_dual_and_b32 v2, 31, v0
	v_lshlrev_b32_e32 v3, 3, v0
	v_lshrrev_b32_e32 v4, 2, v0
	s_add_u32 s12, s0, 24
	s_addc_u32 s13, s1, 0
	v_cmp_eq_u32_e64 s1, 0, v2
	v_lshl_add_u32 v14, v2, 3, 0
	v_add_co_u32 v2, s3, s8, v3
	s_delay_alu instid0(VALU_DEP_1)
	v_add_co_ci_u32_e64 v3, null, s9, 0, s3
	v_cmp_gt_u32_e64 s0, 32, v0
	v_cmp_eq_u32_e64 s2, 0, v0
	v_mbcnt_lo_u32_b32 v12, -1, 0
	v_lshlrev_b32_e32 v13, 3, v0
	v_add_nc_u32_e32 v15, 0, v4
	s_mov_b64 s[16:17], s[4:5]
                                        ; implicit-def: $sgpr20
                                        ; implicit-def: $sgpr18
                                        ; implicit-def: $sgpr21
                                        ; implicit-def: $sgpr22
                                        ; implicit-def: $vgpr4_vgpr5
	s_waitcnt lgkmcnt(0)
	v_cmp_le_i64_e32 vcc_lo, s[6:7], v[0:1]
	v_cmp_gt_i64_e64 s3, s[6:7], v[0:1]
	s_lshl_b64 s[14:15], s[6:7], 3
	s_xor_b32 s19, vcc_lo, -1
	s_branch .LBB0_5
.LBB0_2:                                ;   in Loop: Header=BB0_5 Depth=1
	s_set_inst_prefetch_distance 0x2
	s_or_b32 exec_lo, exec_lo, s28
	s_add_u32 s16, s16, s24
	s_addc_u32 s17, s17, 0
	s_and_not1_b32 s26, s26, exec_lo
	v_cmp_ge_i64_e64 s4, s[16:17], s[10:11]
	s_and_not1_b32 s25, s25, exec_lo
	s_delay_alu instid0(VALU_DEP_1)
	s_or_not1_b32 s28, s4, exec_lo
.LBB0_3:                                ;   in Loop: Header=BB0_5 Depth=1
	s_or_b32 exec_lo, exec_lo, s27
	s_delay_alu instid0(SALU_CYCLE_1)
	s_and_not1_b32 s4, s22, exec_lo
	s_and_b32 s22, s26, exec_lo
	s_and_not1_b32 s21, s21, exec_lo
	s_and_b32 s24, s25, exec_lo
	s_or_b32 s22, s4, s22
	s_or_b32 s21, s21, s24
	s_or_not1_b32 s24, s28, exec_lo
.LBB0_4:                                ;   in Loop: Header=BB0_5 Depth=1
	s_or_b32 exec_lo, exec_lo, s23
	s_delay_alu instid0(SALU_CYCLE_1) | instskip(NEXT) | instid1(SALU_CYCLE_1)
	s_and_b32 s4, exec_lo, s24
	s_or_b32 s5, s4, s5
	s_and_not1_b32 s4, s18, exec_lo
	s_and_b32 s18, s22, exec_lo
	s_and_not1_b32 s20, s20, exec_lo
	s_and_b32 s23, s21, exec_lo
	s_or_b32 s18, s4, s18
	s_or_b32 s20, s20, s23
	s_and_not1_b32 exec_lo, exec_lo, s5
	s_cbranch_execz .LBB0_30
.LBB0_5:                                ; =>This Loop Header: Depth=1
                                        ;     Child Loop BB0_10 Depth 2
                                        ;     Child Loop BB0_29 Depth 2
	s_waitcnt lgkmcnt(0)
	v_mov_b32_e32 v6, 0
	v_mov_b32_e32 v7, 0
	s_mov_b32 s4, -1
                                        ; implicit-def: $sgpr25
                                        ; implicit-def: $sgpr26
	s_and_saveexec_b32 s23, s3
	s_cbranch_execz .LBB0_15
; %bb.6:                                ;   in Loop: Header=BB0_5 Depth=1
	s_mul_i32 s4, s16, s7
	s_mul_hi_u32 s24, s16, s6
	s_mul_i32 s25, s17, s6
	s_add_i32 s4, s24, s4
	s_mul_i32 s24, s16, s6
	s_add_i32 s25, s4, s25
	v_mov_b32_e32 v6, 0
	s_lshl_b64 s[24:25], s[24:25], 3
	v_mov_b32_e32 v7, 0
	s_add_u32 s24, s8, s24
	s_addc_u32 s25, s9, s25
	s_mov_b32 s4, 0
	global_load_b64 v[4:5], v13, s[24:25]
	s_mov_b32 s25, -1
	s_mov_b32 s26, 0
	s_mov_b32 s24, exec_lo
	s_waitcnt vmcnt(0)
	v_cmpx_ngt_f64_e32 0, v[4:5]
	s_cbranch_execz .LBB0_14
; %bb.7:                                ;   in Loop: Header=BB0_5 Depth=1
	v_add_f64 v[6:7], v[4:5], 0
	s_load_b32 s4, s[12:13], 0xc
	s_mov_b32 s28, 0
	s_mov_b32 s27, exec_lo
	s_waitcnt lgkmcnt(0)
	s_and_b32 s26, s4, 0xffff
	s_delay_alu instid0(SALU_CYCLE_1) | instskip(NEXT) | instid1(VALU_DEP_1)
	v_add_co_u32 v8, s4, v0, s26
	v_add_co_ci_u32_e64 v9, null, 0, 0, s4
	s_mov_b32 s4, -1
	s_delay_alu instid0(VALU_DEP_1)
	v_cmpx_gt_i64_e64 s[6:7], v[8:9]
	s_cbranch_execz .LBB0_13
; %bb.8:                                ;   in Loop: Header=BB0_5 Depth=1
	s_mul_i32 s4, s14, s17
	s_mul_hi_u32 s28, s14, s16
	v_lshlrev_b32_e32 v4, 3, v8
	s_add_i32 s4, s28, s4
	s_mul_i32 s28, s15, s16
	s_mul_i32 s29, s14, s16
	s_add_i32 s4, s4, s28
	s_add_u32 s28, s8, s29
	s_addc_u32 s4, s9, s4
	v_add_co_u32 v10, s28, s28, v4
	s_delay_alu instid0(VALU_DEP_1)
	v_add_co_ci_u32_e64 v11, null, s4, 0, s28
	s_lshl_b32 s28, s26, 3
	s_mov_b32 s29, 0
                                        ; implicit-def: $sgpr30
                                        ; implicit-def: $sgpr33
                                        ; implicit-def: $sgpr31
	s_set_inst_prefetch_distance 0x1
	s_branch .LBB0_10
	.p2align	6
.LBB0_9:                                ;   in Loop: Header=BB0_10 Depth=2
	s_or_b32 exec_lo, exec_lo, s34
	s_xor_b32 s4, s31, -1
	s_and_b32 s34, exec_lo, s33
	s_delay_alu instid0(SALU_CYCLE_1) | instskip(SKIP_2) | instid1(SALU_CYCLE_1)
	s_or_b32 s29, s34, s29
	s_and_not1_b32 s30, s30, exec_lo
	s_and_b32 s4, s4, exec_lo
	s_or_b32 s30, s30, s4
	s_and_not1_b32 exec_lo, exec_lo, s29
	s_cbranch_execz .LBB0_12
.LBB0_10:                               ;   Parent Loop BB0_5 Depth=1
                                        ; =>  This Inner Loop Header: Depth=2
	global_load_b64 v[4:5], v[10:11], off
	s_or_b32 s31, s31, exec_lo
	s_or_b32 s33, s33, exec_lo
	s_mov_b32 s34, exec_lo
	s_waitcnt vmcnt(0)
	v_cmpx_ngt_f64_e32 0, v[4:5]
	s_cbranch_execz .LBB0_9
; %bb.11:                               ;   in Loop: Header=BB0_10 Depth=2
	v_add_f64 v[6:7], v[6:7], v[4:5]
	v_add_co_u32 v8, vcc_lo, v8, s26
	v_add_co_ci_u32_e32 v9, vcc_lo, 0, v9, vcc_lo
	v_add_co_u32 v10, s4, v10, s28
	s_delay_alu instid0(VALU_DEP_1) | instskip(NEXT) | instid1(VALU_DEP_3)
	v_add_co_ci_u32_e64 v11, s4, 0, v11, s4
	v_cmp_le_i64_e32 vcc_lo, s[6:7], v[8:9]
	s_and_not1_b32 s4, s33, exec_lo
	s_and_not1_b32 s31, s31, exec_lo
	s_and_b32 s33, vcc_lo, exec_lo
	s_delay_alu instid0(SALU_CYCLE_1)
	s_or_b32 s33, s4, s33
	s_branch .LBB0_9
.LBB0_12:                               ;   in Loop: Header=BB0_5 Depth=1
	s_set_inst_prefetch_distance 0x2
	s_or_b32 exec_lo, exec_lo, s29
	s_mov_b32 s28, 0
	s_or_not1_b32 s4, s30, exec_lo
.LBB0_13:                               ;   in Loop: Header=BB0_5 Depth=1
	s_or_b32 exec_lo, exec_lo, s27
	s_delay_alu instid0(SALU_CYCLE_1)
	s_and_b32 s26, s28, exec_lo
	s_or_not1_b32 s25, s25, exec_lo
	s_and_b32 s4, s4, exec_lo
.LBB0_14:                               ;   in Loop: Header=BB0_5 Depth=1
	s_or_b32 exec_lo, exec_lo, s24
	s_delay_alu instid0(SALU_CYCLE_1)
	s_and_b32 s26, s26, exec_lo
	s_and_b32 s25, s25, exec_lo
	s_or_not1_b32 s4, s4, exec_lo
.LBB0_15:                               ;   in Loop: Header=BB0_5 Depth=1
	s_or_b32 exec_lo, exec_lo, s23
	s_delay_alu instid0(SALU_CYCLE_1)
	s_and_not1_b32 s22, s22, exec_lo
	s_and_b32 s23, s26, exec_lo
	s_and_not1_b32 s21, s21, exec_lo
	s_and_b32 s25, s25, exec_lo
	s_mov_b32 s24, -1
	s_or_b32 s22, s22, s23
	s_or_b32 s21, s21, s25
	s_and_saveexec_b32 s23, s4
	s_cbranch_execz .LBB0_4
; %bb.16:                               ;   in Loop: Header=BB0_5 Depth=1
	v_cmp_gt_u32_e32 vcc_lo, 16, v12
	s_waitcnt_vscnt null, 0x0
	s_barrier
	buffer_gl0_inv
	v_cndmask_b32_e64 v8, 0, 1, vcc_lo
	v_cmp_gt_u32_e32 vcc_lo, 24, v12
	s_delay_alu instid0(VALU_DEP_2) | instskip(NEXT) | instid1(VALU_DEP_1)
	v_lshlrev_b32_e32 v8, 4, v8
	v_add_lshl_u32 v10, v8, v12, 2
	ds_bpermute_b32 v8, v10, v6
	ds_bpermute_b32 v9, v10, v7
	s_waitcnt lgkmcnt(0)
	v_add_f64 v[6:7], v[6:7], v[8:9]
	v_cndmask_b32_e64 v8, 0, 1, vcc_lo
	v_cmp_gt_u32_e32 vcc_lo, 28, v12
	s_delay_alu instid0(VALU_DEP_2) | instskip(NEXT) | instid1(VALU_DEP_1)
	v_lshlrev_b32_e32 v8, 3, v8
	v_add_lshl_u32 v11, v8, v12, 2
	ds_bpermute_b32 v8, v11, v6
	ds_bpermute_b32 v9, v11, v7
	s_waitcnt lgkmcnt(0)
	v_add_f64 v[6:7], v[6:7], v[8:9]
	;; [unrolled: 9-line block ×3, first 2 shown]
	v_cndmask_b32_e64 v8, 0, 1, vcc_lo
	v_cmp_ne_u32_e32 vcc_lo, 31, v12
	s_delay_alu instid0(VALU_DEP_2) | instskip(NEXT) | instid1(VALU_DEP_1)
	v_lshlrev_b32_e32 v8, 1, v8
	v_add_lshl_u32 v17, v8, v12, 2
	ds_bpermute_b32 v8, v17, v6
	ds_bpermute_b32 v9, v17, v7
	s_waitcnt lgkmcnt(0)
	v_add_f64 v[6:7], v[6:7], v[8:9]
	v_add_co_ci_u32_e32 v8, vcc_lo, 0, v12, vcc_lo
	s_delay_alu instid0(VALU_DEP_1)
	v_lshlrev_b32_e32 v18, 2, v8
	ds_bpermute_b32 v8, v18, v6
	ds_bpermute_b32 v9, v18, v7
	s_and_saveexec_b32 s4, s1
	s_cbranch_execz .LBB0_18
; %bb.17:                               ;   in Loop: Header=BB0_5 Depth=1
	s_waitcnt lgkmcnt(0)
	v_add_f64 v[6:7], v[6:7], v[8:9]
	ds_store_b64 v15, v[6:7]
.LBB0_18:                               ;   in Loop: Header=BB0_5 Depth=1
	s_or_b32 exec_lo, exec_lo, s4
	s_waitcnt lgkmcnt(0)
	s_barrier
	buffer_gl0_inv
	s_clause 0x1
	s_load_b32 s4, s[12:13], 0xc
	s_load_b32 s24, s[12:13], 0x0
	v_mov_b32_e32 v6, 0
	v_mov_b32_e32 v7, 0
	s_waitcnt lgkmcnt(0)
	s_bfe_u32 s25, s4, 0xb0005
	s_delay_alu instid0(SALU_CYCLE_1)
	v_cmp_gt_u32_e32 vcc_lo, s25, v0
	s_and_saveexec_b32 s25, vcc_lo
	s_cbranch_execz .LBB0_20
; %bb.19:                               ;   in Loop: Header=BB0_5 Depth=1
	ds_load_b64 v[6:7], v14
.LBB0_20:                               ;   in Loop: Header=BB0_5 Depth=1
	s_or_b32 exec_lo, exec_lo, s25
	s_and_saveexec_b32 s25, s0
	s_cbranch_execz .LBB0_22
; %bb.21:                               ;   in Loop: Header=BB0_5 Depth=1
	s_waitcnt lgkmcnt(0)
	ds_bpermute_b32 v8, v10, v6
	ds_bpermute_b32 v9, v10, v7
	s_waitcnt lgkmcnt(0)
	v_add_f64 v[6:7], v[6:7], v[8:9]
	ds_bpermute_b32 v8, v11, v6
	ds_bpermute_b32 v9, v11, v7
	s_waitcnt lgkmcnt(0)
	v_add_f64 v[6:7], v[6:7], v[8:9]
	;; [unrolled: 4-line block ×5, first 2 shown]
.LBB0_22:                               ;   in Loop: Header=BB0_5 Depth=1
	s_or_b32 exec_lo, exec_lo, s25
	s_mov_b32 s28, -1
	s_mov_b32 s29, -1
                                        ; implicit-def: $sgpr26
                                        ; implicit-def: $sgpr25
	s_and_saveexec_b32 s27, s2
	s_cbranch_execz .LBB0_26
; %bb.23:                               ;   in Loop: Header=BB0_5 Depth=1
	s_mov_b32 s25, 0
	s_mov_b32 s29, 0
	s_mov_b32 s26, exec_lo
	v_cmpx_ngt_f64_e32 0, v[4:5]
	s_cbranch_execz .LBB0_25
; %bb.24:                               ;   in Loop: Header=BB0_5 Depth=1
	s_mov_b32 s29, exec_lo
	s_waitcnt lgkmcnt(0)
	ds_store_b64 v1, v[6:7]
.LBB0_25:                               ;   in Loop: Header=BB0_5 Depth=1
	s_or_b32 exec_lo, exec_lo, s26
	s_mov_b32 s26, -1
	s_or_not1_b32 s29, s29, exec_lo
.LBB0_26:                               ;   in Loop: Header=BB0_5 Depth=1
	s_or_b32 exec_lo, exec_lo, s27
	s_and_saveexec_b32 s27, s29
	s_cbranch_execz .LBB0_3
; %bb.27:                               ;   in Loop: Header=BB0_5 Depth=1
	s_waitcnt lgkmcnt(0)
	s_barrier
	buffer_gl0_inv
	ds_load_b64 v[6:7], v1
	s_waitcnt lgkmcnt(0)
	v_cmp_lt_f64_e32 vcc_lo, 0, v[6:7]
	s_and_b32 s29, vcc_lo, s19
	s_delay_alu instid0(SALU_CYCLE_1)
	s_and_saveexec_b32 s28, s29
	s_cbranch_execz .LBB0_2
; %bb.28:                               ;   in Loop: Header=BB0_5 Depth=1
	v_mad_u64_u32 v[8:9], null, s14, s16, v[2:3]
	s_mul_i32 s30, s15, s16
	s_mul_i32 s31, s14, s17
	v_dual_mov_b32 v11, v1 :: v_dual_mov_b32 v10, v0
	s_and_b32 s29, s4, 0xffff
	s_delay_alu instid0(VALU_DEP_2)
	v_add3_u32 v9, s31, s30, v9
	s_lshl_b32 s30, s29, 3
	s_mov_b32 s31, 0
	s_set_inst_prefetch_distance 0x1
	.p2align	6
.LBB0_29:                               ;   Parent Loop BB0_5 Depth=1
                                        ; =>  This Inner Loop Header: Depth=2
	global_load_b64 v[16:17], v[8:9], off
	s_waitcnt vmcnt(0)
	v_div_scale_f64 v[18:19], null, v[6:7], v[6:7], v[16:17]
	v_div_scale_f64 v[24:25], vcc_lo, v[16:17], v[6:7], v[16:17]
	s_delay_alu instid0(VALU_DEP_2) | instskip(SKIP_2) | instid1(VALU_DEP_1)
	v_rcp_f64_e32 v[20:21], v[18:19]
	s_waitcnt_depctr 0xfff
	v_fma_f64 v[22:23], -v[18:19], v[20:21], 1.0
	v_fma_f64 v[20:21], v[20:21], v[22:23], v[20:21]
	s_delay_alu instid0(VALU_DEP_1) | instskip(NEXT) | instid1(VALU_DEP_1)
	v_fma_f64 v[22:23], -v[18:19], v[20:21], 1.0
	v_fma_f64 v[20:21], v[20:21], v[22:23], v[20:21]
	s_delay_alu instid0(VALU_DEP_1) | instskip(NEXT) | instid1(VALU_DEP_1)
	v_mul_f64 v[22:23], v[24:25], v[20:21]
	v_fma_f64 v[18:19], -v[18:19], v[22:23], v[24:25]
	s_delay_alu instid0(VALU_DEP_1) | instskip(SKIP_2) | instid1(VALU_DEP_1)
	v_div_fmas_f64 v[18:19], v[18:19], v[20:21], v[22:23]
	v_add_co_u32 v10, vcc_lo, v10, s29
	v_add_co_ci_u32_e32 v11, vcc_lo, 0, v11, vcc_lo
	v_cmp_le_i64_e32 vcc_lo, s[6:7], v[10:11]
	s_or_b32 s31, vcc_lo, s31
	s_delay_alu instid0(VALU_DEP_4) | instskip(SKIP_2) | instid1(VALU_DEP_1)
	v_div_fixup_f64 v[16:17], v[18:19], v[6:7], v[16:17]
	global_store_b64 v[8:9], v[16:17], off
	v_add_co_u32 v8, s4, v8, s30
	v_add_co_ci_u32_e64 v9, s4, 0, v9, s4
	s_and_not1_b32 exec_lo, exec_lo, s31
	s_cbranch_execnz .LBB0_29
	s_branch .LBB0_2
.LBB0_30:
	s_or_b32 exec_lo, exec_lo, s5
	s_xor_b32 s1, s20, -1
	s_mov_b32 s0, 0
	s_and_saveexec_b32 s2, s1
	s_delay_alu instid0(SALU_CYCLE_1)
	s_xor_b32 s1, exec_lo, s2
	s_cbranch_execz .LBB0_33
; %bb.31:
	s_and_saveexec_b32 s2, s18
	s_delay_alu instid0(SALU_CYCLE_1)
	s_xor_b32 s2, exec_lo, s2
	s_cbranch_execnz .LBB0_39
.LBB0_32:
	s_or_b32 exec_lo, exec_lo, s2
	s_delay_alu instid0(SALU_CYCLE_1)
	s_and_b32 s0, s0, exec_lo
.LBB0_33:
	s_and_not1_saveexec_b32 s1, s1
	s_cbranch_execnz .LBB0_37
; %bb.34:
	s_or_b32 exec_lo, exec_lo, s1
	s_and_saveexec_b32 s1, s0
.LBB0_35:
	; divergent unreachable
.LBB0_36:
	s_nop 0
	s_sendmsg sendmsg(MSG_DEALLOC_VGPRS)
	s_endpgm
.LBB0_37:
	s_cbranch_execnz .LBB0_41
; %bb.38:
	s_or_b32 s0, s0, exec_lo
	s_or_b32 exec_lo, exec_lo, s1
	s_and_saveexec_b32 s1, s0
	s_cbranch_execnz .LBB0_35
	s_branch .LBB0_36
.LBB0_39:
	s_cbranch_execnz .LBB0_43
; %bb.40:
	s_mov_b32 s0, exec_lo
	s_branch .LBB0_32
.LBB0_41:
	s_trap 2
	s_sendmsg_rtn_b32 s0, sendmsg(MSG_RTN_GET_DOORBELL)
	s_mov_b32 ttmp2, m0
	s_waitcnt lgkmcnt(0)
	s_and_b32 s0, s0, 0x3ff
	s_delay_alu instid0(SALU_CYCLE_1) | instskip(NEXT) | instid1(SALU_CYCLE_1)
	s_bitset1_b32 s0, 10
	s_mov_b32 m0, s0
	s_sendmsg sendmsg(MSG_INTERRUPT)
	s_mov_b32 m0, ttmp2
.LBB0_42:                               ; =>This Inner Loop Header: Depth=1
	s_sethalt 5
	s_branch .LBB0_42
.LBB0_43:
	s_trap 2
	s_sendmsg_rtn_b32 s0, sendmsg(MSG_RTN_GET_DOORBELL)
	s_mov_b32 ttmp2, m0
	s_waitcnt lgkmcnt(0)
	s_and_b32 s0, s0, 0x3ff
	s_delay_alu instid0(SALU_CYCLE_1) | instskip(NEXT) | instid1(SALU_CYCLE_1)
	s_bitset1_b32 s0, 10
	s_mov_b32 m0, s0
	s_sendmsg sendmsg(MSG_INTERRUPT)
	s_mov_b32 m0, ttmp2
.LBB0_44:                               ; =>This Inner Loop Header: Depth=1
	s_sethalt 5
	s_branch .LBB0_44
	.section	.rodata,"a",@progbits
	.p2align	6, 0x0
	.amdhsa_kernel _ZN2at6native12_GLOBAL__N_112renormRowsL1IdEEvPT_ll
		.amdhsa_group_segment_fixed_size 0
		.amdhsa_private_segment_fixed_size 0
		.amdhsa_kernarg_size 280
		.amdhsa_user_sgpr_count 15
		.amdhsa_user_sgpr_dispatch_ptr 0
		.amdhsa_user_sgpr_queue_ptr 0
		.amdhsa_user_sgpr_kernarg_segment_ptr 1
		.amdhsa_user_sgpr_dispatch_id 0
		.amdhsa_user_sgpr_private_segment_size 0
		.amdhsa_wavefront_size32 1
		.amdhsa_uses_dynamic_stack 0
		.amdhsa_enable_private_segment 0
		.amdhsa_system_sgpr_workgroup_id_x 1
		.amdhsa_system_sgpr_workgroup_id_y 0
		.amdhsa_system_sgpr_workgroup_id_z 0
		.amdhsa_system_sgpr_workgroup_info 0
		.amdhsa_system_vgpr_workitem_id 0
		.amdhsa_next_free_vgpr 26
		.amdhsa_next_free_sgpr 35
		.amdhsa_reserve_vcc 1
		.amdhsa_float_round_mode_32 0
		.amdhsa_float_round_mode_16_64 0
		.amdhsa_float_denorm_mode_32 3
		.amdhsa_float_denorm_mode_16_64 3
		.amdhsa_dx10_clamp 1
		.amdhsa_ieee_mode 1
		.amdhsa_fp16_overflow 0
		.amdhsa_workgroup_processor_mode 1
		.amdhsa_memory_ordered 1
		.amdhsa_forward_progress 0
		.amdhsa_shared_vgpr_count 0
		.amdhsa_exception_fp_ieee_invalid_op 0
		.amdhsa_exception_fp_denorm_src 0
		.amdhsa_exception_fp_ieee_div_zero 0
		.amdhsa_exception_fp_ieee_overflow 0
		.amdhsa_exception_fp_ieee_underflow 0
		.amdhsa_exception_fp_ieee_inexact 0
		.amdhsa_exception_int_div_zero 0
	.end_amdhsa_kernel
	.section	.text._ZN2at6native12_GLOBAL__N_112renormRowsL1IdEEvPT_ll,"axG",@progbits,_ZN2at6native12_GLOBAL__N_112renormRowsL1IdEEvPT_ll,comdat
.Lfunc_end0:
	.size	_ZN2at6native12_GLOBAL__N_112renormRowsL1IdEEvPT_ll, .Lfunc_end0-_ZN2at6native12_GLOBAL__N_112renormRowsL1IdEEvPT_ll
                                        ; -- End function
	.section	.AMDGPU.csdata,"",@progbits
; Kernel info:
; codeLenInByte = 1912
; NumSgprs: 37
; NumVgprs: 26
; ScratchSize: 0
; MemoryBound: 0
; FloatMode: 240
; IeeeMode: 1
; LDSByteSize: 0 bytes/workgroup (compile time only)
; SGPRBlocks: 4
; VGPRBlocks: 3
; NumSGPRsForWavesPerEU: 37
; NumVGPRsForWavesPerEU: 26
; Occupancy: 16
; WaveLimiterHint : 0
; COMPUTE_PGM_RSRC2:SCRATCH_EN: 0
; COMPUTE_PGM_RSRC2:USER_SGPR: 15
; COMPUTE_PGM_RSRC2:TRAP_HANDLER: 0
; COMPUTE_PGM_RSRC2:TGID_X_EN: 1
; COMPUTE_PGM_RSRC2:TGID_Y_EN: 0
; COMPUTE_PGM_RSRC2:TGID_Z_EN: 0
; COMPUTE_PGM_RSRC2:TIDIG_COMP_CNT: 0
	.section	.text._ZN2at6native12_GLOBAL__N_112renormRowsL1IfEEvPT_ll,"axG",@progbits,_ZN2at6native12_GLOBAL__N_112renormRowsL1IfEEvPT_ll,comdat
	.globl	_ZN2at6native12_GLOBAL__N_112renormRowsL1IfEEvPT_ll ; -- Begin function _ZN2at6native12_GLOBAL__N_112renormRowsL1IfEEvPT_ll
	.p2align	8
	.type	_ZN2at6native12_GLOBAL__N_112renormRowsL1IfEEvPT_ll,@function
_ZN2at6native12_GLOBAL__N_112renormRowsL1IfEEvPT_ll: ; @_ZN2at6native12_GLOBAL__N_112renormRowsL1IfEEvPT_ll
; %bb.0:
	s_load_b128 s[8:11], s[0:1], 0x0
	s_mov_b32 s4, s15
	s_mov_b32 s5, 0
	s_waitcnt lgkmcnt(0)
	v_cmp_ge_i64_e64 s2, s[4:5], s[10:11]
	s_delay_alu instid0(VALU_DEP_1)
	s_and_b32 vcc_lo, exec_lo, s2
	s_cbranch_vccnz .LBB1_36
; %bb.1:
	s_load_b64 s[6:7], s[0:1], 0x10
	v_dual_mov_b32 v1, 0 :: v_dual_and_b32 v2, 31, v0
	v_lshlrev_b32_e32 v3, 2, v0
	v_lshrrev_b32_e32 v4, 3, v0
	s_add_u32 s12, s0, 24
	s_addc_u32 s13, s1, 0
	v_cmp_eq_u32_e64 s1, 0, v2
	v_lshl_add_u32 v10, v2, 2, 0
	v_add_co_u32 v2, s3, s8, v3
	s_delay_alu instid0(VALU_DEP_1)
	v_add_co_ci_u32_e64 v3, null, s9, 0, s3
	v_cmp_gt_u32_e64 s0, 32, v0
	v_cmp_eq_u32_e64 s2, 0, v0
	v_mbcnt_lo_u32_b32 v8, -1, 0
	v_lshlrev_b32_e32 v9, 2, v0
	v_add_nc_u32_e32 v11, 0, v4
	s_mov_b64 s[16:17], s[4:5]
                                        ; implicit-def: $sgpr20
                                        ; implicit-def: $sgpr18
                                        ; implicit-def: $sgpr21
                                        ; implicit-def: $sgpr22
                                        ; implicit-def: $vgpr12
	s_waitcnt lgkmcnt(0)
	v_cmp_le_i64_e32 vcc_lo, s[6:7], v[0:1]
	v_cmp_gt_i64_e64 s3, s[6:7], v[0:1]
	s_lshl_b64 s[14:15], s[6:7], 2
	s_xor_b32 s19, vcc_lo, -1
	s_branch .LBB1_5
.LBB1_2:                                ;   in Loop: Header=BB1_5 Depth=1
	s_set_inst_prefetch_distance 0x2
	s_or_b32 exec_lo, exec_lo, s28
	s_add_u32 s16, s16, s24
	s_addc_u32 s17, s17, 0
	s_and_not1_b32 s26, s26, exec_lo
	v_cmp_ge_i64_e64 s4, s[16:17], s[10:11]
	s_and_not1_b32 s25, s25, exec_lo
	s_delay_alu instid0(VALU_DEP_1)
	s_or_not1_b32 s28, s4, exec_lo
.LBB1_3:                                ;   in Loop: Header=BB1_5 Depth=1
	s_or_b32 exec_lo, exec_lo, s27
	s_delay_alu instid0(SALU_CYCLE_1)
	s_and_not1_b32 s4, s22, exec_lo
	s_and_b32 s22, s26, exec_lo
	s_and_not1_b32 s21, s21, exec_lo
	s_and_b32 s24, s25, exec_lo
	s_or_b32 s22, s4, s22
	s_or_b32 s21, s21, s24
	s_or_not1_b32 s24, s28, exec_lo
.LBB1_4:                                ;   in Loop: Header=BB1_5 Depth=1
	s_or_b32 exec_lo, exec_lo, s23
	s_delay_alu instid0(SALU_CYCLE_1) | instskip(NEXT) | instid1(SALU_CYCLE_1)
	s_and_b32 s4, exec_lo, s24
	s_or_b32 s5, s4, s5
	s_and_not1_b32 s4, s18, exec_lo
	s_and_b32 s18, s22, exec_lo
	s_and_not1_b32 s20, s20, exec_lo
	s_and_b32 s23, s21, exec_lo
	s_or_b32 s18, s4, s18
	s_or_b32 s20, s20, s23
	s_and_not1_b32 exec_lo, exec_lo, s5
	s_cbranch_execz .LBB1_30
.LBB1_5:                                ; =>This Loop Header: Depth=1
                                        ;     Child Loop BB1_10 Depth 2
                                        ;     Child Loop BB1_29 Depth 2
	v_mov_b32_e32 v13, 0
	s_mov_b32 s4, -1
                                        ; implicit-def: $sgpr25
                                        ; implicit-def: $sgpr26
	s_and_saveexec_b32 s23, s3
	s_cbranch_execz .LBB1_15
; %bb.6:                                ;   in Loop: Header=BB1_5 Depth=1
	s_mul_i32 s4, s16, s7
	s_mul_hi_u32 s24, s16, s6
	s_mul_i32 s25, s17, s6
	s_add_i32 s4, s24, s4
	s_mul_i32 s24, s16, s6
	s_add_i32 s25, s4, s25
	v_mov_b32_e32 v13, 0
	s_lshl_b64 s[24:25], s[24:25], 2
	s_mov_b32 s4, 0
	s_add_u32 s24, s8, s24
	s_addc_u32 s25, s9, s25
	s_mov_b32 s26, 0
	global_load_b32 v12, v9, s[24:25]
	s_mov_b32 s25, -1
	s_mov_b32 s24, exec_lo
	s_waitcnt vmcnt(0)
	v_cmpx_ngt_f32_e32 0, v12
	s_cbranch_execz .LBB1_14
; %bb.7:                                ;   in Loop: Header=BB1_5 Depth=1
	s_load_b32 s4, s[12:13], 0xc
	v_add_f32_e32 v13, 0, v12
	s_mov_b32 s28, 0
	s_mov_b32 s27, exec_lo
	s_waitcnt lgkmcnt(0)
	s_and_b32 s26, s4, 0xffff
	s_delay_alu instid0(SALU_CYCLE_1) | instskip(NEXT) | instid1(VALU_DEP_1)
	v_add_co_u32 v4, s4, v0, s26
	v_add_co_ci_u32_e64 v5, null, 0, 0, s4
	s_mov_b32 s4, -1
	s_delay_alu instid0(VALU_DEP_1)
	v_cmpx_gt_i64_e64 s[6:7], v[4:5]
	s_cbranch_execz .LBB1_13
; %bb.8:                                ;   in Loop: Header=BB1_5 Depth=1
	s_mul_i32 s4, s14, s17
	s_mul_hi_u32 s28, s14, s16
	v_lshlrev_b32_e32 v6, 2, v4
	s_add_i32 s4, s28, s4
	s_mul_i32 s28, s15, s16
	s_mul_i32 s29, s14, s16
	s_add_i32 s4, s4, s28
	s_add_u32 s28, s8, s29
	s_addc_u32 s4, s9, s4
	v_add_co_u32 v6, s28, s28, v6
	s_delay_alu instid0(VALU_DEP_1)
	v_add_co_ci_u32_e64 v7, null, s4, 0, s28
	s_lshl_b32 s28, s26, 2
	s_mov_b32 s29, 0
                                        ; implicit-def: $sgpr30
                                        ; implicit-def: $sgpr33
                                        ; implicit-def: $sgpr31
	s_set_inst_prefetch_distance 0x1
	s_branch .LBB1_10
	.p2align	6
.LBB1_9:                                ;   in Loop: Header=BB1_10 Depth=2
	s_or_b32 exec_lo, exec_lo, s34
	s_xor_b32 s4, s31, -1
	s_and_b32 s34, exec_lo, s33
	s_delay_alu instid0(SALU_CYCLE_1) | instskip(SKIP_2) | instid1(SALU_CYCLE_1)
	s_or_b32 s29, s34, s29
	s_and_not1_b32 s30, s30, exec_lo
	s_and_b32 s4, s4, exec_lo
	s_or_b32 s30, s30, s4
	s_and_not1_b32 exec_lo, exec_lo, s29
	s_cbranch_execz .LBB1_12
.LBB1_10:                               ;   Parent Loop BB1_5 Depth=1
                                        ; =>  This Inner Loop Header: Depth=2
	global_load_b32 v12, v[6:7], off
	s_or_b32 s31, s31, exec_lo
	s_or_b32 s33, s33, exec_lo
	s_mov_b32 s34, exec_lo
	s_waitcnt vmcnt(0)
	v_cmpx_ngt_f32_e32 0, v12
	s_cbranch_execz .LBB1_9
; %bb.11:                               ;   in Loop: Header=BB1_10 Depth=2
	v_add_co_u32 v4, vcc_lo, v4, s26
	v_add_co_ci_u32_e32 v5, vcc_lo, 0, v5, vcc_lo
	v_add_co_u32 v6, s4, v6, s28
	v_add_f32_e32 v13, v13, v12
	s_delay_alu instid0(VALU_DEP_3) | instskip(SKIP_4) | instid1(SALU_CYCLE_1)
	v_cmp_le_i64_e32 vcc_lo, s[6:7], v[4:5]
	v_add_co_ci_u32_e64 v7, s4, 0, v7, s4
	s_and_not1_b32 s4, s33, exec_lo
	s_and_not1_b32 s31, s31, exec_lo
	s_and_b32 s33, vcc_lo, exec_lo
	s_or_b32 s33, s4, s33
	s_branch .LBB1_9
.LBB1_12:                               ;   in Loop: Header=BB1_5 Depth=1
	s_set_inst_prefetch_distance 0x2
	s_or_b32 exec_lo, exec_lo, s29
	s_mov_b32 s28, 0
	s_or_not1_b32 s4, s30, exec_lo
.LBB1_13:                               ;   in Loop: Header=BB1_5 Depth=1
	s_or_b32 exec_lo, exec_lo, s27
	s_delay_alu instid0(SALU_CYCLE_1)
	s_and_b32 s26, s28, exec_lo
	s_or_not1_b32 s25, s25, exec_lo
	s_and_b32 s4, s4, exec_lo
.LBB1_14:                               ;   in Loop: Header=BB1_5 Depth=1
	s_or_b32 exec_lo, exec_lo, s24
	s_delay_alu instid0(SALU_CYCLE_1)
	s_and_b32 s26, s26, exec_lo
	s_and_b32 s25, s25, exec_lo
	s_or_not1_b32 s4, s4, exec_lo
.LBB1_15:                               ;   in Loop: Header=BB1_5 Depth=1
	s_or_b32 exec_lo, exec_lo, s23
	s_delay_alu instid0(SALU_CYCLE_1)
	s_and_not1_b32 s22, s22, exec_lo
	s_and_b32 s23, s26, exec_lo
	s_and_not1_b32 s21, s21, exec_lo
	s_and_b32 s25, s25, exec_lo
	s_mov_b32 s24, -1
	s_or_b32 s22, s22, s23
	s_or_b32 s21, s21, s25
	s_and_saveexec_b32 s23, s4
	s_cbranch_execz .LBB1_4
; %bb.16:                               ;   in Loop: Header=BB1_5 Depth=1
	v_cmp_gt_u32_e32 vcc_lo, 16, v8
	s_waitcnt lgkmcnt(0)
	s_waitcnt_vscnt null, 0x0
	s_barrier
	buffer_gl0_inv
	v_cndmask_b32_e64 v4, 0, 1, vcc_lo
	v_cmp_gt_u32_e32 vcc_lo, 24, v8
	s_delay_alu instid0(VALU_DEP_2) | instskip(SKIP_2) | instid1(VALU_DEP_3)
	v_lshlrev_b32_e32 v4, 4, v4
	v_cndmask_b32_e64 v5, 0, 1, vcc_lo
	v_cmp_gt_u32_e32 vcc_lo, 28, v8
	v_add_lshl_u32 v4, v4, v8, 2
	s_delay_alu instid0(VALU_DEP_3)
	v_lshlrev_b32_e32 v5, 3, v5
	ds_bpermute_b32 v6, v4, v13
	v_add_lshl_u32 v5, v5, v8, 2
	s_waitcnt lgkmcnt(0)
	v_add_f32_e32 v7, v13, v6
	v_cndmask_b32_e64 v6, 0, 1, vcc_lo
	v_cmp_gt_u32_e32 vcc_lo, 30, v8
	ds_bpermute_b32 v13, v5, v7
	s_waitcnt lgkmcnt(0)
	v_dual_add_f32 v13, v7, v13 :: v_dual_lshlrev_b32 v6, 2, v6
	s_delay_alu instid0(VALU_DEP_1)
	v_add_lshl_u32 v6, v6, v8, 2
	v_cndmask_b32_e64 v7, 0, 1, vcc_lo
	v_cmp_ne_u32_e32 vcc_lo, 31, v8
	ds_bpermute_b32 v14, v6, v13
	v_lshlrev_b32_e32 v7, 1, v7
	v_add_co_ci_u32_e32 v15, vcc_lo, 0, v8, vcc_lo
	s_delay_alu instid0(VALU_DEP_2)
	v_add_lshl_u32 v7, v7, v8, 2
	s_waitcnt lgkmcnt(0)
	v_add_f32_e32 v13, v13, v14
	ds_bpermute_b32 v14, v7, v13
	s_waitcnt lgkmcnt(0)
	v_dual_add_f32 v14, v13, v14 :: v_dual_lshlrev_b32 v13, 2, v15
	ds_bpermute_b32 v15, v13, v14
	s_and_saveexec_b32 s4, s1
	s_cbranch_execz .LBB1_18
; %bb.17:                               ;   in Loop: Header=BB1_5 Depth=1
	s_waitcnt lgkmcnt(0)
	v_add_f32_e32 v14, v14, v15
	ds_store_b32 v11, v14
.LBB1_18:                               ;   in Loop: Header=BB1_5 Depth=1
	s_or_b32 exec_lo, exec_lo, s4
	s_waitcnt lgkmcnt(0)
	s_barrier
	buffer_gl0_inv
	s_clause 0x1
	s_load_b32 s4, s[12:13], 0xc
	s_load_b32 s24, s[12:13], 0x0
	v_mov_b32_e32 v14, 0
	s_waitcnt lgkmcnt(0)
	s_bfe_u32 s25, s4, 0xb0005
	s_delay_alu instid0(SALU_CYCLE_1)
	v_cmp_gt_u32_e32 vcc_lo, s25, v0
	s_and_saveexec_b32 s25, vcc_lo
	s_cbranch_execz .LBB1_20
; %bb.19:                               ;   in Loop: Header=BB1_5 Depth=1
	ds_load_b32 v14, v10
.LBB1_20:                               ;   in Loop: Header=BB1_5 Depth=1
	s_or_b32 exec_lo, exec_lo, s25
	s_and_saveexec_b32 s25, s0
	s_cbranch_execz .LBB1_22
; %bb.21:                               ;   in Loop: Header=BB1_5 Depth=1
	s_waitcnt lgkmcnt(0)
	ds_bpermute_b32 v4, v4, v14
	s_waitcnt lgkmcnt(0)
	v_add_f32_e32 v4, v14, v4
	ds_bpermute_b32 v5, v5, v4
	s_waitcnt lgkmcnt(0)
	v_add_f32_e32 v4, v4, v5
	;; [unrolled: 3-line block ×5, first 2 shown]
.LBB1_22:                               ;   in Loop: Header=BB1_5 Depth=1
	s_or_b32 exec_lo, exec_lo, s25
	s_mov_b32 s28, -1
	s_mov_b32 s29, -1
                                        ; implicit-def: $sgpr26
                                        ; implicit-def: $sgpr25
	s_and_saveexec_b32 s27, s2
	s_cbranch_execz .LBB1_26
; %bb.23:                               ;   in Loop: Header=BB1_5 Depth=1
	s_mov_b32 s25, 0
	s_mov_b32 s29, 0
	s_mov_b32 s26, exec_lo
	v_cmpx_ngt_f32_e32 0, v12
	s_cbranch_execz .LBB1_25
; %bb.24:                               ;   in Loop: Header=BB1_5 Depth=1
	s_mov_b32 s29, exec_lo
	s_waitcnt lgkmcnt(0)
	ds_store_b32 v1, v14
.LBB1_25:                               ;   in Loop: Header=BB1_5 Depth=1
	s_or_b32 exec_lo, exec_lo, s26
	s_mov_b32 s26, -1
	s_or_not1_b32 s29, s29, exec_lo
.LBB1_26:                               ;   in Loop: Header=BB1_5 Depth=1
	s_or_b32 exec_lo, exec_lo, s27
	s_and_saveexec_b32 s27, s29
	s_cbranch_execz .LBB1_3
; %bb.27:                               ;   in Loop: Header=BB1_5 Depth=1
	s_waitcnt lgkmcnt(0)
	s_barrier
	buffer_gl0_inv
	ds_load_b32 v13, v1
	s_waitcnt lgkmcnt(0)
	v_cmp_lt_f32_e32 vcc_lo, 0, v13
	s_and_b32 s29, vcc_lo, s19
	s_delay_alu instid0(SALU_CYCLE_1)
	s_and_saveexec_b32 s28, s29
	s_cbranch_execz .LBB1_2
; %bb.28:                               ;   in Loop: Header=BB1_5 Depth=1
	v_mad_u64_u32 v[4:5], null, s14, s16, v[2:3]
	s_mul_i32 s30, s15, s16
	s_mul_i32 s31, s14, s17
	v_dual_mov_b32 v7, v1 :: v_dual_mov_b32 v6, v0
	s_and_b32 s29, s4, 0xffff
	s_delay_alu instid0(VALU_DEP_2)
	v_add3_u32 v5, s31, s30, v5
	s_lshl_b32 s30, s29, 2
	s_mov_b32 s31, 0
	s_set_inst_prefetch_distance 0x1
	.p2align	6
.LBB1_29:                               ;   Parent Loop BB1_5 Depth=1
                                        ; =>  This Inner Loop Header: Depth=2
	global_load_b32 v14, v[4:5], off
	s_waitcnt vmcnt(0)
	v_div_scale_f32 v15, null, v13, v13, v14
	v_div_scale_f32 v18, vcc_lo, v14, v13, v14
	s_delay_alu instid0(VALU_DEP_2) | instskip(SKIP_2) | instid1(VALU_DEP_1)
	v_rcp_f32_e32 v16, v15
	s_waitcnt_depctr 0xfff
	v_fma_f32 v17, -v15, v16, 1.0
	v_fmac_f32_e32 v16, v17, v16
	s_delay_alu instid0(VALU_DEP_1) | instskip(NEXT) | instid1(VALU_DEP_1)
	v_mul_f32_e32 v17, v18, v16
	v_fma_f32 v19, -v15, v17, v18
	s_delay_alu instid0(VALU_DEP_1) | instskip(NEXT) | instid1(VALU_DEP_1)
	v_fmac_f32_e32 v17, v19, v16
	v_fma_f32 v15, -v15, v17, v18
	s_delay_alu instid0(VALU_DEP_1) | instskip(SKIP_2) | instid1(VALU_DEP_3)
	v_div_fmas_f32 v15, v15, v16, v17
	v_add_co_u32 v6, vcc_lo, v6, s29
	v_add_co_ci_u32_e32 v7, vcc_lo, 0, v7, vcc_lo
	v_div_fixup_f32 v14, v15, v13, v14
	s_delay_alu instid0(VALU_DEP_2) | instskip(SKIP_2) | instid1(VALU_DEP_1)
	v_cmp_le_i64_e32 vcc_lo, s[6:7], v[6:7]
	global_store_b32 v[4:5], v14, off
	v_add_co_u32 v4, s4, v4, s30
	v_add_co_ci_u32_e64 v5, s4, 0, v5, s4
	s_or_b32 s31, vcc_lo, s31
	s_delay_alu instid0(SALU_CYCLE_1)
	s_and_not1_b32 exec_lo, exec_lo, s31
	s_cbranch_execnz .LBB1_29
	s_branch .LBB1_2
.LBB1_30:
	s_or_b32 exec_lo, exec_lo, s5
	s_xor_b32 s1, s20, -1
	s_mov_b32 s0, 0
	s_and_saveexec_b32 s2, s1
	s_delay_alu instid0(SALU_CYCLE_1)
	s_xor_b32 s1, exec_lo, s2
	s_cbranch_execz .LBB1_33
; %bb.31:
	s_and_saveexec_b32 s2, s18
	s_delay_alu instid0(SALU_CYCLE_1)
	s_xor_b32 s2, exec_lo, s2
	s_cbranch_execnz .LBB1_39
.LBB1_32:
	s_or_b32 exec_lo, exec_lo, s2
	s_delay_alu instid0(SALU_CYCLE_1)
	s_and_b32 s0, s0, exec_lo
.LBB1_33:
	s_and_not1_saveexec_b32 s1, s1
	s_cbranch_execnz .LBB1_37
; %bb.34:
	s_or_b32 exec_lo, exec_lo, s1
	s_and_saveexec_b32 s1, s0
.LBB1_35:
	; divergent unreachable
.LBB1_36:
	s_nop 0
	s_sendmsg sendmsg(MSG_DEALLOC_VGPRS)
	s_endpgm
.LBB1_37:
	s_cbranch_execnz .LBB1_41
; %bb.38:
	s_or_b32 s0, s0, exec_lo
	s_or_b32 exec_lo, exec_lo, s1
	s_and_saveexec_b32 s1, s0
	s_cbranch_execnz .LBB1_35
	s_branch .LBB1_36
.LBB1_39:
	s_cbranch_execnz .LBB1_43
; %bb.40:
	s_mov_b32 s0, exec_lo
	s_branch .LBB1_32
.LBB1_41:
	s_trap 2
	s_sendmsg_rtn_b32 s0, sendmsg(MSG_RTN_GET_DOORBELL)
	s_mov_b32 ttmp2, m0
	s_waitcnt lgkmcnt(0)
	s_and_b32 s0, s0, 0x3ff
	s_delay_alu instid0(SALU_CYCLE_1) | instskip(NEXT) | instid1(SALU_CYCLE_1)
	s_bitset1_b32 s0, 10
	s_mov_b32 m0, s0
	s_sendmsg sendmsg(MSG_INTERRUPT)
	s_mov_b32 m0, ttmp2
.LBB1_42:                               ; =>This Inner Loop Header: Depth=1
	s_sethalt 5
	s_branch .LBB1_42
.LBB1_43:
	s_trap 2
	s_sendmsg_rtn_b32 s0, sendmsg(MSG_RTN_GET_DOORBELL)
	s_mov_b32 ttmp2, m0
	s_waitcnt lgkmcnt(0)
	s_and_b32 s0, s0, 0x3ff
	s_delay_alu instid0(SALU_CYCLE_1) | instskip(NEXT) | instid1(SALU_CYCLE_1)
	s_bitset1_b32 s0, 10
	s_mov_b32 m0, s0
	s_sendmsg sendmsg(MSG_INTERRUPT)
	s_mov_b32 m0, ttmp2
.LBB1_44:                               ; =>This Inner Loop Header: Depth=1
	s_sethalt 5
	s_branch .LBB1_44
	.section	.rodata,"a",@progbits
	.p2align	6, 0x0
	.amdhsa_kernel _ZN2at6native12_GLOBAL__N_112renormRowsL1IfEEvPT_ll
		.amdhsa_group_segment_fixed_size 0
		.amdhsa_private_segment_fixed_size 0
		.amdhsa_kernarg_size 280
		.amdhsa_user_sgpr_count 15
		.amdhsa_user_sgpr_dispatch_ptr 0
		.amdhsa_user_sgpr_queue_ptr 0
		.amdhsa_user_sgpr_kernarg_segment_ptr 1
		.amdhsa_user_sgpr_dispatch_id 0
		.amdhsa_user_sgpr_private_segment_size 0
		.amdhsa_wavefront_size32 1
		.amdhsa_uses_dynamic_stack 0
		.amdhsa_enable_private_segment 0
		.amdhsa_system_sgpr_workgroup_id_x 1
		.amdhsa_system_sgpr_workgroup_id_y 0
		.amdhsa_system_sgpr_workgroup_id_z 0
		.amdhsa_system_sgpr_workgroup_info 0
		.amdhsa_system_vgpr_workitem_id 0
		.amdhsa_next_free_vgpr 20
		.amdhsa_next_free_sgpr 35
		.amdhsa_reserve_vcc 1
		.amdhsa_float_round_mode_32 0
		.amdhsa_float_round_mode_16_64 0
		.amdhsa_float_denorm_mode_32 3
		.amdhsa_float_denorm_mode_16_64 3
		.amdhsa_dx10_clamp 1
		.amdhsa_ieee_mode 1
		.amdhsa_fp16_overflow 0
		.amdhsa_workgroup_processor_mode 1
		.amdhsa_memory_ordered 1
		.amdhsa_forward_progress 0
		.amdhsa_shared_vgpr_count 0
		.amdhsa_exception_fp_ieee_invalid_op 0
		.amdhsa_exception_fp_denorm_src 0
		.amdhsa_exception_fp_ieee_div_zero 0
		.amdhsa_exception_fp_ieee_overflow 0
		.amdhsa_exception_fp_ieee_underflow 0
		.amdhsa_exception_fp_ieee_inexact 0
		.amdhsa_exception_int_div_zero 0
	.end_amdhsa_kernel
	.section	.text._ZN2at6native12_GLOBAL__N_112renormRowsL1IfEEvPT_ll,"axG",@progbits,_ZN2at6native12_GLOBAL__N_112renormRowsL1IfEEvPT_ll,comdat
.Lfunc_end1:
	.size	_ZN2at6native12_GLOBAL__N_112renormRowsL1IfEEvPT_ll, .Lfunc_end1-_ZN2at6native12_GLOBAL__N_112renormRowsL1IfEEvPT_ll
                                        ; -- End function
	.section	.AMDGPU.csdata,"",@progbits
; Kernel info:
; codeLenInByte = 1756
; NumSgprs: 37
; NumVgprs: 20
; ScratchSize: 0
; MemoryBound: 0
; FloatMode: 240
; IeeeMode: 1
; LDSByteSize: 0 bytes/workgroup (compile time only)
; SGPRBlocks: 4
; VGPRBlocks: 2
; NumSGPRsForWavesPerEU: 37
; NumVGPRsForWavesPerEU: 20
; Occupancy: 16
; WaveLimiterHint : 0
; COMPUTE_PGM_RSRC2:SCRATCH_EN: 0
; COMPUTE_PGM_RSRC2:USER_SGPR: 15
; COMPUTE_PGM_RSRC2:TRAP_HANDLER: 0
; COMPUTE_PGM_RSRC2:TGID_X_EN: 1
; COMPUTE_PGM_RSRC2:TGID_Y_EN: 0
; COMPUTE_PGM_RSRC2:TGID_Z_EN: 0
; COMPUTE_PGM_RSRC2:TIDIG_COMP_CNT: 0
	.section	.text._ZN2at6native12_GLOBAL__N_112renormRowsL1IN3c104HalfEEEvPT_ll,"axG",@progbits,_ZN2at6native12_GLOBAL__N_112renormRowsL1IN3c104HalfEEEvPT_ll,comdat
	.globl	_ZN2at6native12_GLOBAL__N_112renormRowsL1IN3c104HalfEEEvPT_ll ; -- Begin function _ZN2at6native12_GLOBAL__N_112renormRowsL1IN3c104HalfEEEvPT_ll
	.p2align	8
	.type	_ZN2at6native12_GLOBAL__N_112renormRowsL1IN3c104HalfEEEvPT_ll,@function
_ZN2at6native12_GLOBAL__N_112renormRowsL1IN3c104HalfEEEvPT_ll: ; @_ZN2at6native12_GLOBAL__N_112renormRowsL1IN3c104HalfEEEvPT_ll
; %bb.0:
	s_load_b128 s[8:11], s[0:1], 0x0
	s_mov_b32 s6, s15
	s_mov_b32 s7, 0
	s_waitcnt lgkmcnt(0)
	v_cmp_ge_i64_e64 s2, s[6:7], s[10:11]
	s_delay_alu instid0(VALU_DEP_1)
	s_and_b32 vcc_lo, exec_lo, s2
	s_cbranch_vccnz .LBB2_47
; %bb.1:
	s_load_b64 s[12:13], s[0:1], 0x10
	v_dual_mov_b32 v2, 0 :: v_dual_and_b32 v3, 31, v0
	v_lshrrev_b32_e32 v4, 4, v0
	s_add_u32 s14, s0, 24
	s_delay_alu instid0(VALU_DEP_2)
	v_dual_mov_b32 v1, v2 :: v_dual_lshlrev_b32 v12, 1, v0
	v_cmp_gt_u32_e64 s0, 32, v0
	v_cmp_eq_u32_e64 s2, 0, v0
	v_mbcnt_lo_u32_b32 v11, -1, 0
	s_addc_u32 s15, s1, 0
	v_cmp_eq_u32_e64 s1, 0, v3
	v_lshl_add_u32 v13, v3, 1, 0
	v_add_nc_u32_e32 v14, 0, v4
	s_mov_b64 s[18:19], s[6:7]
                                        ; implicit-def: $sgpr21
                                        ; implicit-def: $sgpr6
                                        ; implicit-def: $sgpr22
                                        ; implicit-def: $sgpr23
                                        ; implicit-def: $vgpr15
	s_waitcnt lgkmcnt(0)
	v_cmp_le_i64_e32 vcc_lo, s[12:13], v[0:1]
	v_cmp_gt_i64_e64 s3, s[12:13], v[0:1]
	s_lshl_b64 s[16:17], s[12:13], 1
	s_xor_b32 s20, vcc_lo, -1
	s_branch .LBB2_5
.LBB2_2:                                ;   in Loop: Header=BB2_5 Depth=1
	s_or_b32 exec_lo, exec_lo, s29
	s_add_u32 s18, s18, s25
	s_addc_u32 s19, s19, 0
	s_and_not1_b32 s27, s27, exec_lo
	v_cmp_ge_i64_e64 s4, s[18:19], s[10:11]
	s_and_not1_b32 s26, s26, exec_lo
	s_delay_alu instid0(VALU_DEP_1)
	s_or_not1_b32 s5, s4, exec_lo
.LBB2_3:                                ;   in Loop: Header=BB2_5 Depth=1
	s_or_b32 exec_lo, exec_lo, s28
	s_delay_alu instid0(SALU_CYCLE_1)
	s_and_not1_b32 s4, s23, exec_lo
	s_and_b32 s23, s27, exec_lo
	s_and_not1_b32 s22, s22, exec_lo
	s_and_b32 s25, s26, exec_lo
	s_or_b32 s23, s4, s23
	s_or_b32 s22, s22, s25
	s_or_not1_b32 s5, s5, exec_lo
.LBB2_4:                                ;   in Loop: Header=BB2_5 Depth=1
	s_or_b32 exec_lo, exec_lo, s24
	s_delay_alu instid0(SALU_CYCLE_1) | instskip(NEXT) | instid1(SALU_CYCLE_1)
	s_and_b32 s4, exec_lo, s5
	s_or_b32 s7, s4, s7
	s_and_not1_b32 s4, s6, exec_lo
	s_and_b32 s5, s23, exec_lo
	s_and_not1_b32 s21, s21, exec_lo
	s_and_b32 s24, s22, exec_lo
	s_or_b32 s6, s4, s5
	s_or_b32 s21, s21, s24
	s_and_not1_b32 exec_lo, exec_lo, s7
	s_cbranch_execz .LBB2_41
.LBB2_5:                                ; =>This Loop Header: Depth=1
                                        ;     Child Loop BB2_10 Depth 2
                                        ;     Child Loop BB2_36 Depth 2
	;; [unrolled: 1-line block ×3, first 2 shown]
	v_mov_b32_e32 v3, 0
	s_mov_b32 s4, -1
                                        ; implicit-def: $sgpr24
                                        ; implicit-def: $sgpr26
	s_and_saveexec_b32 s5, s3
	s_cbranch_execz .LBB2_17
; %bb.6:                                ;   in Loop: Header=BB2_5 Depth=1
	s_mul_i32 s4, s18, s13
	s_mul_hi_u32 s24, s18, s12
	s_mul_i32 s25, s19, s12
	s_add_i32 s4, s24, s4
	s_mul_i32 s24, s18, s12
	s_add_i32 s25, s4, s25
	v_mov_b32_e32 v3, 0
	s_lshl_b64 s[24:25], s[24:25], 1
	s_mov_b32 s4, 0
	s_add_u32 s24, s8, s24
	s_addc_u32 s25, s9, s25
	s_mov_b32 s27, 0
	global_load_u16 v15, v12, s[24:25]
	s_mov_b32 s25, -1
	s_mov_b32 s24, exec_lo
	s_waitcnt vmcnt(0)
	v_cmpx_ngt_f16_e32 0, v15
	s_cbranch_execz .LBB2_16
; %bb.7:                                ;   in Loop: Header=BB2_5 Depth=1
	s_load_b32 s4, s[14:15], 0xc
	v_add_f16_e32 v7, 0, v15
	s_mov_b32 s26, 0
	s_mov_b32 s29, -1
	s_mov_b32 s28, exec_lo
	s_waitcnt lgkmcnt(0)
	s_and_b32 s27, s4, 0xffff
	s_delay_alu instid0(SALU_CYCLE_1) | instskip(NEXT) | instid1(VALU_DEP_1)
	v_add_co_u32 v3, s4, v0, s27
	v_add_co_ci_u32_e64 v4, null, 0, 0, s4
	s_mov_b32 s4, 0
	s_delay_alu instid0(VALU_DEP_1)
	v_cmpx_gt_i64_e64 s[12:13], v[3:4]
	s_cbranch_execz .LBB2_13
; %bb.8:                                ;   in Loop: Header=BB2_5 Depth=1
	s_mul_i32 s4, s16, s19
	s_mul_hi_u32 s29, s16, s18
	v_lshlrev_b32_e32 v5, 1, v3
	s_add_i32 s4, s29, s4
	s_mul_i32 s29, s17, s18
	s_mul_i32 s30, s16, s18
	s_add_i32 s4, s4, s29
	s_add_u32 s29, s8, s30
	s_addc_u32 s4, s9, s4
	v_add_co_u32 v5, s29, s29, v5
	s_delay_alu instid0(VALU_DEP_1)
	v_add_co_ci_u32_e64 v6, null, s4, 0, s29
	s_lshl_b32 s29, s27, 1
	s_mov_b32 s30, 0
                                        ; implicit-def: $sgpr31
                                        ; implicit-def: $sgpr34
                                        ; implicit-def: $sgpr33
	s_set_inst_prefetch_distance 0x1
	s_branch .LBB2_10
	.p2align	6
.LBB2_9:                                ;   in Loop: Header=BB2_10 Depth=2
	s_or_b32 exec_lo, exec_lo, s35
	s_xor_b32 s4, s33, -1
	s_and_b32 s35, exec_lo, s34
	s_delay_alu instid0(SALU_CYCLE_1) | instskip(SKIP_2) | instid1(SALU_CYCLE_1)
	s_or_b32 s30, s35, s30
	s_and_not1_b32 s31, s31, exec_lo
	s_and_b32 s4, s4, exec_lo
	s_or_b32 s31, s31, s4
	s_and_not1_b32 exec_lo, exec_lo, s30
	s_cbranch_execz .LBB2_12
.LBB2_10:                               ;   Parent Loop BB2_5 Depth=1
                                        ; =>  This Inner Loop Header: Depth=2
	global_load_u16 v15, v[5:6], off
	s_or_b32 s33, s33, exec_lo
	s_or_b32 s34, s34, exec_lo
	s_mov_b32 s35, exec_lo
	s_waitcnt vmcnt(0)
	v_cmpx_ngt_f16_e32 0, v15
	s_cbranch_execz .LBB2_9
; %bb.11:                               ;   in Loop: Header=BB2_10 Depth=2
	v_add_co_u32 v3, vcc_lo, v3, s27
	v_add_co_ci_u32_e32 v4, vcc_lo, 0, v4, vcc_lo
	v_add_co_u32 v5, s4, v5, s29
	v_add_f16_e32 v7, v7, v15
	s_delay_alu instid0(VALU_DEP_3) | instskip(SKIP_4) | instid1(SALU_CYCLE_1)
	v_cmp_le_i64_e32 vcc_lo, s[12:13], v[3:4]
	v_add_co_ci_u32_e64 v6, s4, 0, v6, s4
	s_and_not1_b32 s4, s34, exec_lo
	s_and_not1_b32 s33, s33, exec_lo
	s_and_b32 s34, vcc_lo, exec_lo
	s_or_b32 s34, s4, s34
	s_branch .LBB2_9
.LBB2_12:                               ;   in Loop: Header=BB2_5 Depth=1
	s_set_inst_prefetch_distance 0x2
	s_or_b32 exec_lo, exec_lo, s30
	s_mov_b32 s4, 0
	s_or_not1_b32 s29, s31, exec_lo
.LBB2_13:                               ;   in Loop: Header=BB2_5 Depth=1
	s_or_b32 exec_lo, exec_lo, s28
	v_mov_b32_e32 v3, 0
	s_and_saveexec_b32 s27, s29
	s_delay_alu instid0(SALU_CYCLE_1)
	s_xor_b32 s27, exec_lo, s27
; %bb.14:                               ;   in Loop: Header=BB2_5 Depth=1
	v_mov_b32_e32 v3, v7
	s_mov_b32 s26, exec_lo
; %bb.15:                               ;   in Loop: Header=BB2_5 Depth=1
	s_or_b32 exec_lo, exec_lo, s27
	s_delay_alu instid0(SALU_CYCLE_1)
	s_and_b32 s27, s4, exec_lo
	s_or_not1_b32 s25, s25, exec_lo
	s_and_b32 s4, s26, exec_lo
.LBB2_16:                               ;   in Loop: Header=BB2_5 Depth=1
	s_or_b32 exec_lo, exec_lo, s24
	s_delay_alu instid0(SALU_CYCLE_1)
	s_and_b32 s26, s27, exec_lo
	s_and_b32 s24, s25, exec_lo
	s_or_not1_b32 s4, s4, exec_lo
.LBB2_17:                               ;   in Loop: Header=BB2_5 Depth=1
	s_or_b32 exec_lo, exec_lo, s5
	s_delay_alu instid0(SALU_CYCLE_1)
	s_and_not1_b32 s23, s23, exec_lo
	s_and_b32 s25, s26, exec_lo
	s_and_not1_b32 s22, s22, exec_lo
	s_and_b32 s24, s24, exec_lo
	s_mov_b32 s5, -1
	s_or_b32 s23, s23, s25
	s_or_b32 s22, s22, s24
	s_and_saveexec_b32 s24, s4
	s_cbranch_execz .LBB2_4
; %bb.18:                               ;   in Loop: Header=BB2_5 Depth=1
	v_cmp_gt_u32_e32 vcc_lo, 16, v11
	v_and_b32_e32 v5, 0xffff, v3
	s_waitcnt lgkmcnt(0)
	s_waitcnt_vscnt null, 0x0
	s_barrier
	buffer_gl0_inv
	v_cndmask_b32_e64 v4, 0, 1, vcc_lo
	v_cmp_gt_u32_e32 vcc_lo, 24, v11
	s_delay_alu instid0(VALU_DEP_2) | instskip(SKIP_2) | instid1(VALU_DEP_3)
	v_lshlrev_b32_e32 v4, 4, v4
	v_cndmask_b32_e64 v6, 0, 1, vcc_lo
	v_cmp_gt_u32_e32 vcc_lo, 28, v11
	v_add_lshl_u32 v4, v4, v11, 2
	s_delay_alu instid0(VALU_DEP_3)
	v_lshlrev_b32_e32 v6, 3, v6
	v_cndmask_b32_e64 v7, 0, 1, vcc_lo
	v_cmp_gt_u32_e32 vcc_lo, 30, v11
	ds_bpermute_b32 v5, v4, v5
	v_lshlrev_b32_e32 v7, 2, v7
	v_cndmask_b32_e64 v8, 0, 1, vcc_lo
	v_cmp_ne_u32_e32 vcc_lo, 31, v11
	s_delay_alu instid0(VALU_DEP_2) | instskip(SKIP_3) | instid1(VALU_DEP_2)
	v_lshlrev_b32_e32 v8, 1, v8
	s_waitcnt lgkmcnt(0)
	v_add_f16_e32 v5, v3, v5
	v_add_lshl_u32 v3, v6, v11, 2
	v_and_b32_e32 v6, 0xffff, v5
	ds_bpermute_b32 v6, v3, v6
	s_waitcnt lgkmcnt(0)
	v_add_f16_e32 v6, v5, v6
	v_add_lshl_u32 v5, v7, v11, 2
	s_delay_alu instid0(VALU_DEP_2) | instskip(SKIP_4) | instid1(VALU_DEP_2)
	v_and_b32_e32 v7, 0xffff, v6
	ds_bpermute_b32 v7, v5, v7
	s_waitcnt lgkmcnt(0)
	v_add_f16_e32 v7, v6, v7
	v_add_lshl_u32 v6, v8, v11, 2
	v_and_b32_e32 v8, 0xffff, v7
	ds_bpermute_b32 v8, v6, v8
	s_waitcnt lgkmcnt(0)
	v_add_f16_e32 v8, v7, v8
	v_add_co_ci_u32_e32 v7, vcc_lo, 0, v11, vcc_lo
	s_delay_alu instid0(VALU_DEP_2) | instskip(NEXT) | instid1(VALU_DEP_2)
	v_and_b32_e32 v9, 0xffff, v8
	v_lshlrev_b32_e32 v7, 2, v7
	ds_bpermute_b32 v9, v7, v9
	s_and_saveexec_b32 s4, s1
	s_cbranch_execz .LBB2_20
; %bb.19:                               ;   in Loop: Header=BB2_5 Depth=1
	s_waitcnt lgkmcnt(0)
	v_add_f16_e32 v8, v8, v9
	ds_store_b16 v14, v8
.LBB2_20:                               ;   in Loop: Header=BB2_5 Depth=1
	s_or_b32 exec_lo, exec_lo, s4
	s_waitcnt lgkmcnt(0)
	s_barrier
	buffer_gl0_inv
	s_clause 0x1
	s_load_b32 s4, s[14:15], 0xc
	s_load_b32 s25, s[14:15], 0x0
	v_mov_b32_e32 v8, 0
	s_waitcnt lgkmcnt(0)
	s_bfe_u32 s5, s4, 0xb0005
	s_delay_alu instid0(SALU_CYCLE_1)
	v_cmp_gt_u32_e32 vcc_lo, s5, v0
	s_and_saveexec_b32 s5, vcc_lo
	s_cbranch_execz .LBB2_22
; %bb.21:                               ;   in Loop: Header=BB2_5 Depth=1
	ds_load_u16 v8, v13
.LBB2_22:                               ;   in Loop: Header=BB2_5 Depth=1
	s_or_b32 exec_lo, exec_lo, s5
	s_and_saveexec_b32 s5, s0
	s_cbranch_execz .LBB2_24
; %bb.23:                               ;   in Loop: Header=BB2_5 Depth=1
	s_waitcnt lgkmcnt(0)
	v_and_b32_e32 v9, 0xffff, v8
	ds_bpermute_b32 v4, v4, v9
	s_waitcnt lgkmcnt(0)
	v_add_f16_e32 v4, v8, v4
	s_delay_alu instid0(VALU_DEP_1) | instskip(SKIP_3) | instid1(VALU_DEP_1)
	v_and_b32_e32 v8, 0xffff, v4
	ds_bpermute_b32 v3, v3, v8
	s_waitcnt lgkmcnt(0)
	v_add_f16_e32 v3, v4, v3
	v_and_b32_e32 v4, 0xffff, v3
	ds_bpermute_b32 v4, v5, v4
	s_waitcnt lgkmcnt(0)
	v_add_f16_e32 v3, v3, v4
	s_delay_alu instid0(VALU_DEP_1) | instskip(SKIP_3) | instid1(VALU_DEP_1)
	v_and_b32_e32 v4, 0xffff, v3
	ds_bpermute_b32 v4, v6, v4
	s_waitcnt lgkmcnt(0)
	v_add_f16_e32 v3, v3, v4
	v_and_b32_e32 v4, 0xffff, v3
	ds_bpermute_b32 v4, v7, v4
	s_waitcnt lgkmcnt(0)
	v_add_f16_e32 v8, v3, v4
.LBB2_24:                               ;   in Loop: Header=BB2_5 Depth=1
	s_or_b32 exec_lo, exec_lo, s5
	s_mov_b32 s5, -1
	s_mov_b32 s29, -1
                                        ; implicit-def: $sgpr27
                                        ; implicit-def: $sgpr26
	s_and_saveexec_b32 s28, s2
	s_cbranch_execz .LBB2_28
; %bb.25:                               ;   in Loop: Header=BB2_5 Depth=1
	s_mov_b32 s26, 0
	s_mov_b32 s29, 0
	s_mov_b32 s27, exec_lo
	v_cmpx_ngt_f16_e32 0, v15
	s_cbranch_execz .LBB2_27
; %bb.26:                               ;   in Loop: Header=BB2_5 Depth=1
	s_mov_b32 s29, exec_lo
	s_waitcnt lgkmcnt(0)
	ds_store_b16 v2, v8
.LBB2_27:                               ;   in Loop: Header=BB2_5 Depth=1
	s_or_b32 exec_lo, exec_lo, s27
	s_mov_b32 s27, -1
	s_or_not1_b32 s29, s29, exec_lo
.LBB2_28:                               ;   in Loop: Header=BB2_5 Depth=1
	s_or_b32 exec_lo, exec_lo, s28
	s_and_saveexec_b32 s28, s29
	s_cbranch_execz .LBB2_3
; %bb.29:                               ;   in Loop: Header=BB2_5 Depth=1
	s_waitcnt lgkmcnt(0)
	s_barrier
	buffer_gl0_inv
	ds_load_u16 v16, v2
	s_waitcnt lgkmcnt(0)
	v_cmp_lt_f16_e32 vcc_lo, 0, v16
	s_and_b32 s5, vcc_lo, s20
	s_delay_alu instid0(SALU_CYCLE_1)
	s_and_saveexec_b32 s29, s5
	s_cbranch_execz .LBB2_2
; %bb.30:                               ;   in Loop: Header=BB2_5 Depth=1
	s_and_b32 s30, s4, 0xffff
	s_mov_b32 s5, exec_lo
	v_add_co_u32 v3, s4, v0, s30
	s_delay_alu instid0(VALU_DEP_1) | instskip(NEXT) | instid1(VALU_DEP_1)
	v_add_co_ci_u32_e64 v4, null, 0, 0, s4
	v_cmp_gt_i64_e64 s4, s[12:13], v[3:4]
	s_delay_alu instid0(VALU_DEP_1) | instskip(SKIP_2) | instid1(VALU_DEP_2)
	v_cndmask_b32_e64 v6, v3, s12, s4
	v_cndmask_b32_e64 v7, 0, 1, s4
	;; [unrolled: 1-line block ×3, first 2 shown]
	v_sub_co_u32 v6, vcc_lo, v6, v7
	s_delay_alu instid0(VALU_DEP_2) | instskip(NEXT) | instid1(VALU_DEP_2)
	v_subrev_co_ci_u32_e32 v5, vcc_lo, 0, v5, vcc_lo
	v_sub_co_u32 v6, vcc_lo, v6, v3
	s_delay_alu instid0(VALU_DEP_2) | instskip(NEXT) | instid1(VALU_DEP_1)
	v_sub_co_ci_u32_e32 v3, vcc_lo, v5, v4, vcc_lo
                                        ; implicit-def: $vgpr4_vgpr5
	v_cmpx_ne_u64_e32 0, v[2:3]
	s_xor_b32 s31, exec_lo, s5
	s_cbranch_execz .LBB2_32
; %bb.31:                               ;   in Loop: Header=BB2_5 Depth=1
	v_cvt_f32_u32_e32 v4, s30
	s_sub_u32 s5, 0, s30
	s_subb_u32 s33, 0, 0
	s_delay_alu instid0(VALU_DEP_1) | instskip(NEXT) | instid1(VALU_DEP_1)
	v_fmac_f32_e64 v4, 0, 0x4f800000
	v_rcp_f32_e32 v4, v4
	s_waitcnt_depctr 0xfff
	v_mul_f32_e32 v4, 0x5f7ffffc, v4
	s_delay_alu instid0(VALU_DEP_1) | instskip(NEXT) | instid1(VALU_DEP_1)
	v_mul_f32_e32 v5, 0x2f800000, v4
	v_trunc_f32_e32 v5, v5
	s_delay_alu instid0(VALU_DEP_1) | instskip(SKIP_1) | instid1(VALU_DEP_2)
	v_fmac_f32_e32 v4, 0xcf800000, v5
	v_cvt_u32_f32_e32 v5, v5
	v_cvt_u32_f32_e32 v4, v4
	s_delay_alu instid0(VALU_DEP_2) | instskip(NEXT) | instid1(VALU_DEP_2)
	v_mul_lo_u32 v7, s5, v5
	v_mul_hi_u32 v8, s5, v4
	v_mul_lo_u32 v9, s33, v4
	s_delay_alu instid0(VALU_DEP_2) | instskip(SKIP_1) | instid1(VALU_DEP_2)
	v_add_nc_u32_e32 v7, v8, v7
	v_mul_lo_u32 v8, s5, v4
	v_add_nc_u32_e32 v7, v7, v9
	s_delay_alu instid0(VALU_DEP_2) | instskip(NEXT) | instid1(VALU_DEP_2)
	v_mul_hi_u32 v9, v4, v8
	v_mul_lo_u32 v10, v4, v7
	v_mul_hi_u32 v17, v4, v7
	v_mul_hi_u32 v18, v5, v8
	v_mul_lo_u32 v8, v5, v8
	v_mul_hi_u32 v19, v5, v7
	v_mul_lo_u32 v7, v5, v7
	v_add_co_u32 v9, vcc_lo, v9, v10
	v_add_co_ci_u32_e32 v10, vcc_lo, 0, v17, vcc_lo
	s_delay_alu instid0(VALU_DEP_2) | instskip(NEXT) | instid1(VALU_DEP_2)
	v_add_co_u32 v8, vcc_lo, v9, v8
	v_add_co_ci_u32_e32 v8, vcc_lo, v10, v18, vcc_lo
	v_add_co_ci_u32_e32 v9, vcc_lo, 0, v19, vcc_lo
	s_delay_alu instid0(VALU_DEP_2) | instskip(NEXT) | instid1(VALU_DEP_2)
	v_add_co_u32 v7, vcc_lo, v8, v7
	v_add_co_ci_u32_e32 v8, vcc_lo, 0, v9, vcc_lo
	s_delay_alu instid0(VALU_DEP_2) | instskip(NEXT) | instid1(VALU_DEP_2)
	v_add_co_u32 v4, vcc_lo, v4, v7
	v_add_co_ci_u32_e32 v5, vcc_lo, v5, v8, vcc_lo
	s_delay_alu instid0(VALU_DEP_2) | instskip(SKIP_1) | instid1(VALU_DEP_3)
	v_mul_hi_u32 v7, s5, v4
	v_mul_lo_u32 v9, s33, v4
	v_mul_lo_u32 v8, s5, v5
	s_delay_alu instid0(VALU_DEP_1) | instskip(SKIP_1) | instid1(VALU_DEP_2)
	v_add_nc_u32_e32 v7, v7, v8
	v_mul_lo_u32 v8, s5, v4
	v_add_nc_u32_e32 v7, v7, v9
	s_delay_alu instid0(VALU_DEP_2) | instskip(NEXT) | instid1(VALU_DEP_2)
	v_mul_hi_u32 v9, v4, v8
	v_mul_lo_u32 v10, v4, v7
	v_mul_hi_u32 v17, v4, v7
	v_mul_hi_u32 v18, v5, v8
	v_mul_lo_u32 v8, v5, v8
	v_mul_hi_u32 v19, v5, v7
	v_mul_lo_u32 v7, v5, v7
	v_add_co_u32 v9, vcc_lo, v9, v10
	v_add_co_ci_u32_e32 v10, vcc_lo, 0, v17, vcc_lo
	s_delay_alu instid0(VALU_DEP_2) | instskip(NEXT) | instid1(VALU_DEP_2)
	v_add_co_u32 v8, vcc_lo, v9, v8
	v_add_co_ci_u32_e32 v8, vcc_lo, v10, v18, vcc_lo
	v_add_co_ci_u32_e32 v9, vcc_lo, 0, v19, vcc_lo
	s_delay_alu instid0(VALU_DEP_2) | instskip(NEXT) | instid1(VALU_DEP_2)
	v_add_co_u32 v7, vcc_lo, v8, v7
	v_add_co_ci_u32_e32 v8, vcc_lo, 0, v9, vcc_lo
	s_delay_alu instid0(VALU_DEP_2) | instskip(NEXT) | instid1(VALU_DEP_2)
	v_add_co_u32 v9, vcc_lo, v4, v7
	v_add_co_ci_u32_e32 v17, vcc_lo, v5, v8, vcc_lo
	s_delay_alu instid0(VALU_DEP_2) | instskip(SKIP_1) | instid1(VALU_DEP_3)
	v_mul_hi_u32 v18, v6, v9
	v_mad_u64_u32 v[7:8], null, v3, v9, 0
	v_mad_u64_u32 v[4:5], null, v6, v17, 0
	;; [unrolled: 1-line block ×3, first 2 shown]
	s_delay_alu instid0(VALU_DEP_2) | instskip(NEXT) | instid1(VALU_DEP_3)
	v_add_co_u32 v4, vcc_lo, v18, v4
	v_add_co_ci_u32_e32 v5, vcc_lo, 0, v5, vcc_lo
	s_delay_alu instid0(VALU_DEP_2) | instskip(NEXT) | instid1(VALU_DEP_2)
	v_add_co_u32 v4, vcc_lo, v4, v7
	v_add_co_ci_u32_e32 v4, vcc_lo, v5, v8, vcc_lo
	v_add_co_ci_u32_e32 v5, vcc_lo, 0, v10, vcc_lo
	s_delay_alu instid0(VALU_DEP_2) | instskip(NEXT) | instid1(VALU_DEP_2)
	v_add_co_u32 v9, vcc_lo, v4, v9
	v_add_co_ci_u32_e32 v10, vcc_lo, 0, v5, vcc_lo
	s_delay_alu instid0(VALU_DEP_2) | instskip(NEXT) | instid1(VALU_DEP_1)
	v_mad_u64_u32 v[4:5], null, s30, v9, 0
	v_mad_u64_u32 v[7:8], null, s30, v10, v[5:6]
	s_delay_alu instid0(VALU_DEP_2) | instskip(NEXT) | instid1(VALU_DEP_2)
	v_sub_co_u32 v4, vcc_lo, v6, v4
	v_sub_co_ci_u32_e32 v3, vcc_lo, v3, v7, vcc_lo
	s_delay_alu instid0(VALU_DEP_2) | instskip(NEXT) | instid1(VALU_DEP_2)
	v_sub_co_u32 v5, vcc_lo, v4, s30
	v_subrev_co_ci_u32_e32 v6, vcc_lo, 0, v3, vcc_lo
	s_delay_alu instid0(VALU_DEP_2)
	v_cmp_le_u32_e32 vcc_lo, s30, v5
	v_cmp_eq_u32_e64 s5, 0, v3
	v_cndmask_b32_e64 v5, 0, -1, vcc_lo
	v_add_co_u32 v7, vcc_lo, v9, 2
	v_add_co_ci_u32_e32 v8, vcc_lo, 0, v10, vcc_lo
	v_cmp_le_u32_e32 vcc_lo, s30, v4
	v_cndmask_b32_e64 v4, 0, -1, vcc_lo
	v_cmp_eq_u32_e32 vcc_lo, 0, v6
	s_delay_alu instid0(VALU_DEP_2) | instskip(SKIP_3) | instid1(VALU_DEP_3)
	v_cndmask_b32_e64 v3, -1, v4, s5
	v_cndmask_b32_e32 v5, -1, v5, vcc_lo
	v_add_co_u32 v6, vcc_lo, v9, 1
	v_add_co_ci_u32_e32 v17, vcc_lo, 0, v10, vcc_lo
	v_cmp_ne_u32_e32 vcc_lo, 0, v5
	s_delay_alu instid0(VALU_DEP_2) | instskip(NEXT) | instid1(VALU_DEP_4)
	v_cndmask_b32_e32 v4, v17, v8, vcc_lo
	v_cndmask_b32_e32 v6, v6, v7, vcc_lo
	v_cmp_ne_u32_e32 vcc_lo, 0, v3
	s_delay_alu instid0(VALU_DEP_2)
	v_dual_cndmask_b32 v5, v10, v4 :: v_dual_cndmask_b32 v4, v9, v6
                                        ; implicit-def: $vgpr6
.LBB2_32:                               ;   in Loop: Header=BB2_5 Depth=1
	s_and_not1_saveexec_b32 s5, s31
	s_cbranch_execz .LBB2_34
; %bb.33:                               ;   in Loop: Header=BB2_5 Depth=1
	v_cvt_f32_u32_e32 v3, s30
	s_sub_i32 s31, 0, s30
	s_delay_alu instid0(VALU_DEP_1) | instskip(SKIP_2) | instid1(VALU_DEP_1)
	v_rcp_iflag_f32_e32 v3, v3
	s_waitcnt_depctr 0xfff
	v_mul_f32_e32 v3, 0x4f7ffffe, v3
	v_cvt_u32_f32_e32 v3, v3
	s_delay_alu instid0(VALU_DEP_1) | instskip(NEXT) | instid1(VALU_DEP_1)
	v_mul_lo_u32 v4, s31, v3
	v_mul_hi_u32 v4, v3, v4
	s_delay_alu instid0(VALU_DEP_1) | instskip(NEXT) | instid1(VALU_DEP_1)
	v_add_nc_u32_e32 v3, v3, v4
	v_mul_hi_u32 v3, v6, v3
	s_delay_alu instid0(VALU_DEP_1) | instskip(SKIP_1) | instid1(VALU_DEP_2)
	v_mul_lo_u32 v4, v3, s30
	v_add_nc_u32_e32 v5, 1, v3
	v_sub_nc_u32_e32 v4, v6, v4
	s_delay_alu instid0(VALU_DEP_1) | instskip(SKIP_1) | instid1(VALU_DEP_2)
	v_subrev_nc_u32_e32 v6, s30, v4
	v_cmp_le_u32_e32 vcc_lo, s30, v4
	v_dual_cndmask_b32 v4, v4, v6 :: v_dual_cndmask_b32 v3, v3, v5
	s_delay_alu instid0(VALU_DEP_1) | instskip(NEXT) | instid1(VALU_DEP_2)
	v_cmp_le_u32_e32 vcc_lo, s30, v4
	v_add_nc_u32_e32 v5, 1, v3
	s_delay_alu instid0(VALU_DEP_1)
	v_dual_cndmask_b32 v4, v3, v5 :: v_dual_mov_b32 v5, v2
.LBB2_34:                               ;   in Loop: Header=BB2_5 Depth=1
	s_or_b32 exec_lo, exec_lo, s5
	v_cndmask_b32_e64 v3, 1, 2, s4
	s_cmp_eq_u32 s30, 1
	v_dual_mov_b32 v8, v1 :: v_dual_mov_b32 v7, v0
	s_cselect_b32 s4, -1, 0
	s_delay_alu instid0(VALU_DEP_2) | instskip(SKIP_1) | instid1(VALU_DEP_1)
	v_add_co_u32 v3, vcc_lo, v3, v4
	v_add_co_ci_u32_e32 v4, vcc_lo, 0, v5, vcc_lo
	v_cmp_lt_u64_e32 vcc_lo, 1, v[3:4]
	s_and_b32 s31, vcc_lo, s4
	s_mov_b32 s4, -1
	s_and_saveexec_b32 s5, s31
	s_cbranch_execz .LBB2_38
; %bb.35:                               ;   in Loop: Header=BB2_5 Depth=1
	s_mul_i32 s4, s18, s13
	s_mul_hi_u32 s31, s18, s12
	s_mul_i32 s34, s18, s12
	s_add_i32 s4, s31, s4
	s_mul_i32 s31, s19, s12
	v_dual_mov_b32 v6, v4 :: v_dual_and_b32 v7, 0xffff, v16
	s_add_i32 s35, s4, s31
	v_and_b32_e32 v5, -2, v3
	s_lshl_b64 s[34:35], s[34:35], 1
	s_delay_alu instid0(VALU_DEP_2) | instskip(SKIP_3) | instid1(VALU_DEP_1)
	v_lshl_or_b32 v17, v16, 16, v7
	s_add_u32 s4, s8, s34
	s_addc_u32 s31, s9, s35
	v_add_co_u32 v7, s4, s4, v12
	v_add_co_ci_u32_e64 v8, null, s31, 0, s4
	v_dual_mov_b32 v10, v6 :: v_dual_mov_b32 v9, v5
	s_lshl_b32 s33, s30, 2
	s_mov_b32 s31, 0
.LBB2_36:                               ;   Parent Loop BB2_5 Depth=1
                                        ; =>  This Inner Loop Header: Depth=2
	global_load_b32 v18, v[7:8], off
	v_lshrrev_b32_e32 v19, 16, v17
	v_cvt_f32_f16_e32 v20, v17
	v_add_co_u32 v9, vcc_lo, v9, -2
	v_add_co_ci_u32_e32 v10, vcc_lo, -1, v10, vcc_lo
	s_delay_alu instid0(VALU_DEP_4) | instskip(NEXT) | instid1(VALU_DEP_4)
	v_cvt_f32_f16_e32 v21, v19
	v_rcp_f32_e32 v20, v20
	s_delay_alu instid0(VALU_DEP_2) | instskip(NEXT) | instid1(VALU_DEP_2)
	v_cmp_eq_u64_e32 vcc_lo, 0, v[9:10]
	v_rcp_f32_e32 v21, v21
	s_or_b32 s31, vcc_lo, s31
	s_waitcnt vmcnt(0)
	v_lshrrev_b32_e32 v22, 16, v18
	v_cvt_f32_f16_e32 v23, v18
	s_delay_alu instid0(VALU_DEP_2) | instskip(SKIP_2) | instid1(VALU_DEP_1)
	v_cvt_f32_f16_e32 v24, v22
	s_waitcnt_depctr 0xfff
	v_dual_mul_f32 v23, v23, v20 :: v_dual_mul_f32 v24, v24, v21
	v_fma_mix_f32 v25, -v17, v23, v18 op_sel_hi:[1,0,1]
	s_delay_alu instid0(VALU_DEP_2) | instskip(NEXT) | instid1(VALU_DEP_1)
	v_fma_mix_f32 v26, -v17, v24, v18 op_sel:[1,0,1] op_sel_hi:[1,0,1]
	v_dual_fmac_f32 v23, v25, v20 :: v_dual_fmac_f32 v24, v26, v21
	s_delay_alu instid0(VALU_DEP_1) | instskip(NEXT) | instid1(VALU_DEP_2)
	v_fma_mix_f32 v25, -v17, v23, v18 op_sel_hi:[1,0,1]
	v_fma_mix_f32 v26, -v17, v24, v18 op_sel:[1,0,1] op_sel_hi:[1,0,1]
	s_delay_alu instid0(VALU_DEP_1) | instskip(NEXT) | instid1(VALU_DEP_1)
	v_dual_mul_f32 v20, v25, v20 :: v_dual_mul_f32 v21, v26, v21
	v_and_b32_e32 v20, 0xff800000, v20
	s_delay_alu instid0(VALU_DEP_1) | instskip(NEXT) | instid1(VALU_DEP_1)
	v_dual_add_f32 v20, v20, v23 :: v_dual_and_b32 v21, 0xff800000, v21
	v_add_f32_e32 v21, v21, v24
	s_delay_alu instid0(VALU_DEP_2) | instskip(NEXT) | instid1(VALU_DEP_2)
	v_cvt_f16_f32_e32 v20, v20
	v_cvt_f16_f32_e32 v21, v21
	s_delay_alu instid0(VALU_DEP_2) | instskip(NEXT) | instid1(VALU_DEP_2)
	v_div_fixup_f16 v18, v20, v17, v18
	v_div_fixup_f16 v19, v21, v19, v22
	s_delay_alu instid0(VALU_DEP_1) | instskip(SKIP_2) | instid1(VALU_DEP_1)
	v_pack_b32_f16 v18, v18, v19
	global_store_b32 v[7:8], v18, off
	v_add_co_u32 v7, s4, v7, s33
	v_add_co_ci_u32_e64 v8, s4, 0, v8, s4
	s_and_not1_b32 exec_lo, exec_lo, s31
	s_cbranch_execnz .LBB2_36
; %bb.37:                               ;   in Loop: Header=BB2_5 Depth=1
	s_or_b32 exec_lo, exec_lo, s31
	v_mad_u64_u32 v[7:8], null, v5, s30, v[0:1]
	v_cmp_ne_u64_e32 vcc_lo, v[3:4], v[5:6]
	s_or_not1_b32 s4, vcc_lo, exec_lo
	s_delay_alu instid0(VALU_DEP_2) | instskip(NEXT) | instid1(VALU_DEP_1)
	v_mad_u64_u32 v[9:10], null, v6, s30, v[8:9]
	v_mov_b32_e32 v8, v9
.LBB2_38:                               ;   in Loop: Header=BB2_5 Depth=1
	s_or_b32 exec_lo, exec_lo, s5
	s_delay_alu instid0(SALU_CYCLE_1)
	s_and_b32 exec_lo, exec_lo, s4
	s_cbranch_execz .LBB2_2
; %bb.39:                               ;   in Loop: Header=BB2_5 Depth=1
	s_mul_i32 s4, s16, s19
	s_mul_hi_u32 s5, s16, s18
	v_lshlrev_b64 v[3:4], 1, v[7:8]
	s_add_i32 s4, s5, s4
	s_mul_i32 s5, s17, s18
	s_mul_i32 s31, s16, s18
	s_add_i32 s4, s4, s5
	s_add_u32 s5, s8, s31
	s_addc_u32 s4, s9, s4
	v_add_co_u32 v3, vcc_lo, s5, v3
	v_add_co_ci_u32_e32 v4, vcc_lo, s4, v4, vcc_lo
	s_lshl_b32 s5, s30, 1
	s_mov_b32 s31, 0
	.p2align	6
.LBB2_40:                               ;   Parent Loop BB2_5 Depth=1
                                        ; =>  This Inner Loop Header: Depth=2
	global_load_u16 v5, v[3:4], off
	v_cvt_f32_f16_e32 v6, v16
	v_add_co_u32 v7, vcc_lo, v7, s30
	v_add_co_ci_u32_e32 v8, vcc_lo, 0, v8, vcc_lo
	s_delay_alu instid0(VALU_DEP_3) | instskip(NEXT) | instid1(VALU_DEP_1)
	v_rcp_f32_e32 v6, v6
	v_cmp_le_i64_e32 vcc_lo, s[12:13], v[7:8]
	s_or_b32 s31, vcc_lo, s31
	s_waitcnt vmcnt(0)
	v_cvt_f32_f16_e32 v9, v5
	s_waitcnt_depctr 0xfff
	v_mul_f32_e32 v9, v9, v6
	s_delay_alu instid0(VALU_DEP_1) | instskip(NEXT) | instid1(VALU_DEP_1)
	v_fma_mix_f32 v10, -v16, v9, v5 op_sel_hi:[1,0,1]
	v_fmac_f32_e32 v9, v10, v6
	s_delay_alu instid0(VALU_DEP_1) | instskip(NEXT) | instid1(VALU_DEP_1)
	v_fma_mix_f32 v10, -v16, v9, v5 op_sel_hi:[1,0,1]
	v_mul_f32_e32 v6, v10, v6
	s_delay_alu instid0(VALU_DEP_1) | instskip(NEXT) | instid1(VALU_DEP_1)
	v_and_b32_e32 v6, 0xff800000, v6
	v_add_f32_e32 v6, v6, v9
	s_delay_alu instid0(VALU_DEP_1) | instskip(NEXT) | instid1(VALU_DEP_1)
	v_cvt_f16_f32_e32 v6, v6
	v_div_fixup_f16 v5, v6, v16, v5
	global_store_b16 v[3:4], v5, off
	v_add_co_u32 v3, s4, v3, s5
	s_delay_alu instid0(VALU_DEP_1)
	v_add_co_ci_u32_e64 v4, s4, 0, v4, s4
	s_and_not1_b32 exec_lo, exec_lo, s31
	s_cbranch_execnz .LBB2_40
	s_branch .LBB2_2
.LBB2_41:
	s_or_b32 exec_lo, exec_lo, s7
	s_xor_b32 s1, s21, -1
	s_mov_b32 s0, 0
	s_and_saveexec_b32 s2, s1
	s_delay_alu instid0(SALU_CYCLE_1)
	s_xor_b32 s1, exec_lo, s2
	s_cbranch_execz .LBB2_44
; %bb.42:
	s_and_saveexec_b32 s2, s6
	s_delay_alu instid0(SALU_CYCLE_1)
	s_xor_b32 s2, exec_lo, s2
	s_cbranch_execnz .LBB2_50
.LBB2_43:
	s_or_b32 exec_lo, exec_lo, s2
	s_delay_alu instid0(SALU_CYCLE_1)
	s_and_b32 s0, s0, exec_lo
.LBB2_44:
	s_and_not1_saveexec_b32 s1, s1
	s_cbranch_execnz .LBB2_48
; %bb.45:
	s_or_b32 exec_lo, exec_lo, s1
	s_and_saveexec_b32 s1, s0
.LBB2_46:
	; divergent unreachable
.LBB2_47:
	s_nop 0
	s_sendmsg sendmsg(MSG_DEALLOC_VGPRS)
	s_endpgm
.LBB2_48:
	s_cbranch_execnz .LBB2_52
; %bb.49:
	s_or_b32 s0, s0, exec_lo
	s_or_b32 exec_lo, exec_lo, s1
	s_and_saveexec_b32 s1, s0
	s_cbranch_execnz .LBB2_46
	s_branch .LBB2_47
.LBB2_50:
	s_cbranch_execnz .LBB2_54
; %bb.51:
	s_mov_b32 s0, exec_lo
	s_branch .LBB2_43
.LBB2_52:
	s_trap 2
	s_sendmsg_rtn_b32 s0, sendmsg(MSG_RTN_GET_DOORBELL)
	s_mov_b32 ttmp2, m0
	s_waitcnt lgkmcnt(0)
	s_and_b32 s0, s0, 0x3ff
	s_delay_alu instid0(SALU_CYCLE_1) | instskip(NEXT) | instid1(SALU_CYCLE_1)
	s_bitset1_b32 s0, 10
	s_mov_b32 m0, s0
	s_sendmsg sendmsg(MSG_INTERRUPT)
	s_mov_b32 m0, ttmp2
.LBB2_53:                               ; =>This Inner Loop Header: Depth=1
	s_sethalt 5
	s_branch .LBB2_53
.LBB2_54:
	s_trap 2
	s_sendmsg_rtn_b32 s0, sendmsg(MSG_RTN_GET_DOORBELL)
	s_mov_b32 ttmp2, m0
	s_waitcnt lgkmcnt(0)
	s_and_b32 s0, s0, 0x3ff
	s_delay_alu instid0(SALU_CYCLE_1) | instskip(NEXT) | instid1(SALU_CYCLE_1)
	s_bitset1_b32 s0, 10
	s_mov_b32 m0, s0
	s_sendmsg sendmsg(MSG_INTERRUPT)
	s_mov_b32 m0, ttmp2
.LBB2_55:                               ; =>This Inner Loop Header: Depth=1
	s_sethalt 5
	s_branch .LBB2_55
	.section	.rodata,"a",@progbits
	.p2align	6, 0x0
	.amdhsa_kernel _ZN2at6native12_GLOBAL__N_112renormRowsL1IN3c104HalfEEEvPT_ll
		.amdhsa_group_segment_fixed_size 0
		.amdhsa_private_segment_fixed_size 0
		.amdhsa_kernarg_size 280
		.amdhsa_user_sgpr_count 15
		.amdhsa_user_sgpr_dispatch_ptr 0
		.amdhsa_user_sgpr_queue_ptr 0
		.amdhsa_user_sgpr_kernarg_segment_ptr 1
		.amdhsa_user_sgpr_dispatch_id 0
		.amdhsa_user_sgpr_private_segment_size 0
		.amdhsa_wavefront_size32 1
		.amdhsa_uses_dynamic_stack 0
		.amdhsa_enable_private_segment 0
		.amdhsa_system_sgpr_workgroup_id_x 1
		.amdhsa_system_sgpr_workgroup_id_y 0
		.amdhsa_system_sgpr_workgroup_id_z 0
		.amdhsa_system_sgpr_workgroup_info 0
		.amdhsa_system_vgpr_workitem_id 0
		.amdhsa_next_free_vgpr 27
		.amdhsa_next_free_sgpr 36
		.amdhsa_reserve_vcc 1
		.amdhsa_float_round_mode_32 0
		.amdhsa_float_round_mode_16_64 0
		.amdhsa_float_denorm_mode_32 3
		.amdhsa_float_denorm_mode_16_64 3
		.amdhsa_dx10_clamp 1
		.amdhsa_ieee_mode 1
		.amdhsa_fp16_overflow 0
		.amdhsa_workgroup_processor_mode 1
		.amdhsa_memory_ordered 1
		.amdhsa_forward_progress 0
		.amdhsa_shared_vgpr_count 0
		.amdhsa_exception_fp_ieee_invalid_op 0
		.amdhsa_exception_fp_denorm_src 0
		.amdhsa_exception_fp_ieee_div_zero 0
		.amdhsa_exception_fp_ieee_overflow 0
		.amdhsa_exception_fp_ieee_underflow 0
		.amdhsa_exception_fp_ieee_inexact 0
		.amdhsa_exception_int_div_zero 0
	.end_amdhsa_kernel
	.section	.text._ZN2at6native12_GLOBAL__N_112renormRowsL1IN3c104HalfEEEvPT_ll,"axG",@progbits,_ZN2at6native12_GLOBAL__N_112renormRowsL1IN3c104HalfEEEvPT_ll,comdat
.Lfunc_end2:
	.size	_ZN2at6native12_GLOBAL__N_112renormRowsL1IN3c104HalfEEEvPT_ll, .Lfunc_end2-_ZN2at6native12_GLOBAL__N_112renormRowsL1IN3c104HalfEEEvPT_ll
                                        ; -- End function
	.section	.AMDGPU.csdata,"",@progbits
; Kernel info:
; codeLenInByte = 3248
; NumSgprs: 38
; NumVgprs: 27
; ScratchSize: 0
; MemoryBound: 0
; FloatMode: 240
; IeeeMode: 1
; LDSByteSize: 0 bytes/workgroup (compile time only)
; SGPRBlocks: 4
; VGPRBlocks: 3
; NumSGPRsForWavesPerEU: 38
; NumVGPRsForWavesPerEU: 27
; Occupancy: 16
; WaveLimiterHint : 0
; COMPUTE_PGM_RSRC2:SCRATCH_EN: 0
; COMPUTE_PGM_RSRC2:USER_SGPR: 15
; COMPUTE_PGM_RSRC2:TRAP_HANDLER: 0
; COMPUTE_PGM_RSRC2:TGID_X_EN: 1
; COMPUTE_PGM_RSRC2:TGID_Y_EN: 0
; COMPUTE_PGM_RSRC2:TGID_Z_EN: 0
; COMPUTE_PGM_RSRC2:TIDIG_COMP_CNT: 0
	.section	.text._ZN2at6native12_GLOBAL__N_112renormRowsL1IN3c108BFloat16EEEvPT_ll,"axG",@progbits,_ZN2at6native12_GLOBAL__N_112renormRowsL1IN3c108BFloat16EEEvPT_ll,comdat
	.globl	_ZN2at6native12_GLOBAL__N_112renormRowsL1IN3c108BFloat16EEEvPT_ll ; -- Begin function _ZN2at6native12_GLOBAL__N_112renormRowsL1IN3c108BFloat16EEEvPT_ll
	.p2align	8
	.type	_ZN2at6native12_GLOBAL__N_112renormRowsL1IN3c108BFloat16EEEvPT_ll,@function
_ZN2at6native12_GLOBAL__N_112renormRowsL1IN3c108BFloat16EEEvPT_ll: ; @_ZN2at6native12_GLOBAL__N_112renormRowsL1IN3c108BFloat16EEEvPT_ll
; %bb.0:
	s_load_b128 s[8:11], s[0:1], 0x0
	s_mov_b32 s6, s15
	s_mov_b32 s7, 0
	s_waitcnt lgkmcnt(0)
	v_cmp_ge_i64_e64 s2, s[6:7], s[10:11]
	s_delay_alu instid0(VALU_DEP_1)
	s_and_b32 vcc_lo, exec_lo, s2
	s_cbranch_vccnz .LBB3_45
; %bb.1:
	s_load_b64 s[12:13], s[0:1], 0x10
	v_dual_mov_b32 v2, 0 :: v_dual_and_b32 v3, 31, v0
	v_lshrrev_b32_e32 v4, 4, v0
	s_add_u32 s14, s0, 24
	s_delay_alu instid0(VALU_DEP_2)
	v_dual_mov_b32 v1, v2 :: v_dual_lshlrev_b32 v12, 1, v0
	v_cmp_gt_u32_e64 s0, 32, v0
	v_cmp_eq_u32_e64 s2, 0, v0
	v_mbcnt_lo_u32_b32 v11, -1, 0
	s_addc_u32 s15, s1, 0
	v_cmp_eq_u32_e64 s1, 0, v3
	v_lshl_add_u32 v13, v3, 1, 0
	v_add_nc_u32_e32 v14, 0, v4
	s_mov_b64 s[18:19], s[6:7]
                                        ; implicit-def: $sgpr21
                                        ; implicit-def: $sgpr6
                                        ; implicit-def: $sgpr22
                                        ; implicit-def: $sgpr23
                                        ; implicit-def: $vgpr15
	s_waitcnt lgkmcnt(0)
	v_cmp_le_i64_e32 vcc_lo, s[12:13], v[0:1]
	v_cmp_gt_i64_e64 s3, s[12:13], v[0:1]
	s_lshl_b64 s[16:17], s[12:13], 1
	s_xor_b32 s20, vcc_lo, -1
	s_branch .LBB3_5
.LBB3_2:                                ;   in Loop: Header=BB3_5 Depth=1
	s_set_inst_prefetch_distance 0x2
	s_or_b32 exec_lo, exec_lo, s29
	s_add_u32 s18, s18, s25
	s_addc_u32 s19, s19, 0
	s_and_not1_b32 s27, s27, exec_lo
	v_cmp_ge_i64_e64 s4, s[18:19], s[10:11]
	s_and_not1_b32 s26, s26, exec_lo
	s_delay_alu instid0(VALU_DEP_1)
	s_or_not1_b32 s5, s4, exec_lo
.LBB3_3:                                ;   in Loop: Header=BB3_5 Depth=1
	s_or_b32 exec_lo, exec_lo, s28
	s_delay_alu instid0(SALU_CYCLE_1)
	s_and_not1_b32 s4, s23, exec_lo
	s_and_b32 s23, s27, exec_lo
	s_and_not1_b32 s22, s22, exec_lo
	s_and_b32 s25, s26, exec_lo
	s_or_b32 s23, s4, s23
	s_or_b32 s22, s22, s25
	s_or_not1_b32 s5, s5, exec_lo
.LBB3_4:                                ;   in Loop: Header=BB3_5 Depth=1
	s_or_b32 exec_lo, exec_lo, s24
	s_delay_alu instid0(SALU_CYCLE_1) | instskip(NEXT) | instid1(SALU_CYCLE_1)
	s_and_b32 s4, exec_lo, s5
	s_or_b32 s7, s4, s7
	s_and_not1_b32 s4, s6, exec_lo
	s_and_b32 s5, s23, exec_lo
	s_and_not1_b32 s21, s21, exec_lo
	s_and_b32 s24, s22, exec_lo
	s_or_b32 s6, s4, s5
	s_or_b32 s21, s21, s24
	s_and_not1_b32 exec_lo, exec_lo, s7
	s_cbranch_execz .LBB3_39
.LBB3_5:                                ; =>This Loop Header: Depth=1
                                        ;     Child Loop BB3_10 Depth 2
                                        ;     Child Loop BB3_34 Depth 2
                                        ;     Child Loop BB3_38 Depth 2
	v_mov_b32_e32 v7, 0
	s_mov_b32 s4, -1
                                        ; implicit-def: $sgpr24
                                        ; implicit-def: $sgpr26
	s_and_saveexec_b32 s5, s3
	s_cbranch_execz .LBB3_15
; %bb.6:                                ;   in Loop: Header=BB3_5 Depth=1
	s_mul_i32 s4, s18, s13
	s_mul_hi_u32 s24, s18, s12
	s_mul_i32 s25, s19, s12
	s_add_i32 s4, s24, s4
	s_mul_i32 s24, s18, s12
	s_add_i32 s25, s4, s25
	v_mov_b32_e32 v7, 0
	s_lshl_b64 s[24:25], s[24:25], 1
	s_mov_b32 s4, 0
	s_add_u32 s24, s8, s24
	s_addc_u32 s25, s9, s25
	s_mov_b32 s26, 0
	global_load_u16 v15, v12, s[24:25]
	s_mov_b32 s25, -1
	s_mov_b32 s24, exec_lo
	s_waitcnt vmcnt(0)
	v_lshlrev_b32_e32 v5, 16, v15
	s_delay_alu instid0(VALU_DEP_1)
	v_cmpx_ngt_f32_e32 0, v5
	s_cbranch_execz .LBB3_14
; %bb.7:                                ;   in Loop: Header=BB3_5 Depth=1
	s_load_b32 s4, s[14:15], 0xc
	v_add_f32_e32 v3, 0, v5
	s_mov_b32 s28, 0
	s_mov_b32 s27, exec_lo
	s_delay_alu instid0(VALU_DEP_1) | instskip(NEXT) | instid1(VALU_DEP_1)
	v_bfe_u32 v4, v3, 16, 1
	v_add3_u32 v6, v3, v4, 0x7fff
	s_delay_alu instid0(VALU_DEP_1) | instskip(SKIP_2) | instid1(SALU_CYCLE_1)
	v_lshrrev_b32_e32 v6, 16, v6
	s_waitcnt lgkmcnt(0)
	s_and_b32 s26, s4, 0xffff
	v_add_co_u32 v3, s4, v0, s26
	s_delay_alu instid0(VALU_DEP_1) | instskip(SKIP_1) | instid1(VALU_DEP_1)
	v_add_co_ci_u32_e64 v4, null, 0, 0, s4
	v_cmp_o_f32_e64 s4, v5, v5
	v_cndmask_b32_e64 v7, 0x7fc0, v6, s4
	s_mov_b32 s4, -1
	s_delay_alu instid0(VALU_DEP_3)
	v_cmpx_gt_i64_e64 s[12:13], v[3:4]
	s_cbranch_execz .LBB3_13
; %bb.8:                                ;   in Loop: Header=BB3_5 Depth=1
	s_mul_i32 s4, s16, s19
	s_mul_hi_u32 s28, s16, s18
	v_lshlrev_b32_e32 v5, 1, v3
	s_add_i32 s4, s28, s4
	s_mul_i32 s28, s17, s18
	s_mul_i32 s29, s16, s18
	s_add_i32 s4, s4, s28
	s_add_u32 s28, s8, s29
	s_addc_u32 s4, s9, s4
	v_add_co_u32 v5, s28, s28, v5
	s_delay_alu instid0(VALU_DEP_1)
	v_add_co_ci_u32_e64 v6, null, s4, 0, s28
	s_lshl_b32 s28, s26, 1
	s_mov_b32 s29, 0
                                        ; implicit-def: $sgpr30
                                        ; implicit-def: $sgpr33
                                        ; implicit-def: $sgpr31
	s_set_inst_prefetch_distance 0x1
	s_branch .LBB3_10
	.p2align	6
.LBB3_9:                                ;   in Loop: Header=BB3_10 Depth=2
	s_or_b32 exec_lo, exec_lo, s34
	s_xor_b32 s4, s31, -1
	s_and_b32 s34, exec_lo, s33
	s_delay_alu instid0(SALU_CYCLE_1) | instskip(SKIP_2) | instid1(SALU_CYCLE_1)
	s_or_b32 s29, s34, s29
	s_and_not1_b32 s30, s30, exec_lo
	s_and_b32 s4, s4, exec_lo
	s_or_b32 s30, s30, s4
	s_and_not1_b32 exec_lo, exec_lo, s29
	s_cbranch_execz .LBB3_12
.LBB3_10:                               ;   Parent Loop BB3_5 Depth=1
                                        ; =>  This Inner Loop Header: Depth=2
	global_load_u16 v15, v[5:6], off
	s_or_b32 s31, s31, exec_lo
	s_or_b32 s33, s33, exec_lo
	s_mov_b32 s34, exec_lo
	s_waitcnt vmcnt(0)
	v_lshlrev_b32_e32 v8, 16, v15
	s_delay_alu instid0(VALU_DEP_1)
	v_cmpx_ngt_f32_e32 0, v8
	s_cbranch_execz .LBB3_9
; %bb.11:                               ;   in Loop: Header=BB3_10 Depth=2
	v_lshlrev_b32_e32 v7, 16, v7
	v_add_co_u32 v3, vcc_lo, v3, s26
	v_add_co_ci_u32_e32 v4, vcc_lo, 0, v4, vcc_lo
	s_delay_alu instid0(VALU_DEP_3) | instskip(SKIP_1) | instid1(VALU_DEP_1)
	v_add_f32_e32 v7, v7, v8
	v_add_co_u32 v5, s4, v5, s28
	v_add_co_ci_u32_e64 v6, s4, 0, v6, s4
	s_delay_alu instid0(VALU_DEP_3) | instskip(SKIP_3) | instid1(VALU_DEP_3)
	v_bfe_u32 v8, v7, 16, 1
	v_cmp_le_i64_e32 vcc_lo, s[12:13], v[3:4]
	v_cmp_o_f32_e64 s4, v7, v7
	s_and_not1_b32 s31, s31, exec_lo
	v_add3_u32 v8, v7, v8, 0x7fff
	s_delay_alu instid0(VALU_DEP_1) | instskip(NEXT) | instid1(VALU_DEP_1)
	v_lshrrev_b32_e32 v8, 16, v8
	v_cndmask_b32_e64 v7, 0x7fc0, v8, s4
	s_and_not1_b32 s4, s33, exec_lo
	s_and_b32 s33, vcc_lo, exec_lo
	s_delay_alu instid0(SALU_CYCLE_1)
	s_or_b32 s33, s4, s33
	s_branch .LBB3_9
.LBB3_12:                               ;   in Loop: Header=BB3_5 Depth=1
	s_set_inst_prefetch_distance 0x2
	s_or_b32 exec_lo, exec_lo, s29
	s_mov_b32 s28, 0
	s_or_not1_b32 s4, s30, exec_lo
.LBB3_13:                               ;   in Loop: Header=BB3_5 Depth=1
	s_or_b32 exec_lo, exec_lo, s27
	s_delay_alu instid0(SALU_CYCLE_1)
	s_and_b32 s26, s28, exec_lo
	s_or_not1_b32 s25, s25, exec_lo
	s_and_b32 s4, s4, exec_lo
.LBB3_14:                               ;   in Loop: Header=BB3_5 Depth=1
	s_or_b32 exec_lo, exec_lo, s24
	s_delay_alu instid0(SALU_CYCLE_1)
	s_and_b32 s26, s26, exec_lo
	s_and_b32 s24, s25, exec_lo
	s_or_not1_b32 s4, s4, exec_lo
.LBB3_15:                               ;   in Loop: Header=BB3_5 Depth=1
	s_or_b32 exec_lo, exec_lo, s5
	s_delay_alu instid0(SALU_CYCLE_1)
	s_and_not1_b32 s23, s23, exec_lo
	s_and_b32 s25, s26, exec_lo
	s_and_not1_b32 s22, s22, exec_lo
	s_and_b32 s24, s24, exec_lo
	s_mov_b32 s5, -1
	s_or_b32 s23, s23, s25
	s_or_b32 s22, s22, s24
	s_and_saveexec_b32 s24, s4
	s_cbranch_execz .LBB3_4
; %bb.16:                               ;   in Loop: Header=BB3_5 Depth=1
	v_cmp_gt_u32_e32 vcc_lo, 16, v11
	v_lshlrev_b32_e32 v4, 16, v7
	s_waitcnt lgkmcnt(0)
	s_waitcnt_vscnt null, 0x0
	s_barrier
	buffer_gl0_inv
	v_cndmask_b32_e64 v3, 0, 1, vcc_lo
	s_delay_alu instid0(VALU_DEP_1) | instskip(NEXT) | instid1(VALU_DEP_1)
	v_lshlrev_b32_e32 v3, 4, v3
	v_add_lshl_u32 v3, v3, v11, 2
	ds_bpermute_b32 v5, v3, v4
	s_waitcnt lgkmcnt(0)
	v_bfe_u32 v6, v5, 16, 1
	v_cmp_o_f32_e32 vcc_lo, v5, v5
	s_delay_alu instid0(VALU_DEP_2) | instskip(NEXT) | instid1(VALU_DEP_1)
	v_add3_u32 v6, v5, v6, 0x7fff
	v_and_b32_e32 v6, 0xffff0000, v6
	s_delay_alu instid0(VALU_DEP_1) | instskip(SKIP_1) | instid1(VALU_DEP_2)
	v_cndmask_b32_e32 v5, 0x7fc00000, v6, vcc_lo
	v_cmp_gt_u32_e32 vcc_lo, 24, v11
	v_add_f32_e32 v5, v5, v4
	v_cndmask_b32_e64 v6, 0, 1, vcc_lo
	s_delay_alu instid0(VALU_DEP_2) | instskip(SKIP_1) | instid1(VALU_DEP_2)
	v_bfe_u32 v4, v5, 16, 1
	v_cmp_o_f32_e32 vcc_lo, v5, v5
	v_add3_u32 v4, v5, v4, 0x7fff
	s_delay_alu instid0(VALU_DEP_1) | instskip(NEXT) | instid1(VALU_DEP_1)
	v_and_b32_e32 v7, 0xffff0000, v4
	v_dual_cndmask_b32 v5, 0x7fc00000, v7 :: v_dual_lshlrev_b32 v6, 3, v6
	s_delay_alu instid0(VALU_DEP_1) | instskip(SKIP_4) | instid1(VALU_DEP_2)
	v_add_lshl_u32 v4, v6, v11, 2
	ds_bpermute_b32 v6, v4, v5
	s_waitcnt lgkmcnt(0)
	v_bfe_u32 v7, v6, 16, 1
	v_cmp_o_f32_e32 vcc_lo, v6, v6
	v_add3_u32 v7, v6, v7, 0x7fff
	s_delay_alu instid0(VALU_DEP_1) | instskip(NEXT) | instid1(VALU_DEP_1)
	v_and_b32_e32 v7, 0xffff0000, v7
	v_cndmask_b32_e32 v6, 0x7fc00000, v7, vcc_lo
	v_cmp_gt_u32_e32 vcc_lo, 28, v11
	s_delay_alu instid0(VALU_DEP_2) | instskip(SKIP_1) | instid1(VALU_DEP_2)
	v_add_f32_e32 v6, v6, v5
	v_cndmask_b32_e64 v7, 0, 1, vcc_lo
	v_bfe_u32 v5, v6, 16, 1
	v_cmp_o_f32_e32 vcc_lo, v6, v6
	s_delay_alu instid0(VALU_DEP_2) | instskip(NEXT) | instid1(VALU_DEP_1)
	v_add3_u32 v5, v6, v5, 0x7fff
	v_and_b32_e32 v8, 0xffff0000, v5
	s_delay_alu instid0(VALU_DEP_1) | instskip(NEXT) | instid1(VALU_DEP_1)
	v_dual_cndmask_b32 v6, 0x7fc00000, v8 :: v_dual_lshlrev_b32 v7, 2, v7
	v_add_lshl_u32 v5, v7, v11, 2
	ds_bpermute_b32 v7, v5, v6
	s_waitcnt lgkmcnt(0)
	v_bfe_u32 v8, v7, 16, 1
	v_cmp_o_f32_e32 vcc_lo, v7, v7
	s_delay_alu instid0(VALU_DEP_2) | instskip(NEXT) | instid1(VALU_DEP_1)
	v_add3_u32 v8, v7, v8, 0x7fff
	v_and_b32_e32 v8, 0xffff0000, v8
	s_delay_alu instid0(VALU_DEP_1) | instskip(SKIP_1) | instid1(VALU_DEP_2)
	v_cndmask_b32_e32 v7, 0x7fc00000, v8, vcc_lo
	v_cmp_gt_u32_e32 vcc_lo, 30, v11
	v_add_f32_e32 v7, v7, v6
	v_cndmask_b32_e64 v8, 0, 1, vcc_lo
	s_delay_alu instid0(VALU_DEP_2) | instskip(SKIP_1) | instid1(VALU_DEP_2)
	v_bfe_u32 v6, v7, 16, 1
	v_cmp_o_f32_e32 vcc_lo, v7, v7
	v_add3_u32 v6, v7, v6, 0x7fff
	s_delay_alu instid0(VALU_DEP_1) | instskip(NEXT) | instid1(VALU_DEP_1)
	v_and_b32_e32 v9, 0xffff0000, v6
	v_dual_cndmask_b32 v7, 0x7fc00000, v9 :: v_dual_lshlrev_b32 v8, 1, v8
	s_delay_alu instid0(VALU_DEP_1) | instskip(SKIP_4) | instid1(VALU_DEP_2)
	v_add_lshl_u32 v6, v8, v11, 2
	ds_bpermute_b32 v8, v6, v7
	s_waitcnt lgkmcnt(0)
	v_bfe_u32 v9, v8, 16, 1
	v_cmp_o_f32_e32 vcc_lo, v8, v8
	v_add3_u32 v9, v8, v9, 0x7fff
	s_delay_alu instid0(VALU_DEP_1) | instskip(NEXT) | instid1(VALU_DEP_1)
	v_and_b32_e32 v9, 0xffff0000, v9
	v_cndmask_b32_e32 v8, 0x7fc00000, v9, vcc_lo
	v_cmp_ne_u32_e32 vcc_lo, 31, v11
	s_delay_alu instid0(VALU_DEP_2) | instskip(SKIP_1) | instid1(VALU_DEP_2)
	v_add_f32_e32 v7, v8, v7
	v_add_co_ci_u32_e32 v9, vcc_lo, 0, v11, vcc_lo
	v_bfe_u32 v8, v7, 16, 1
	s_delay_alu instid0(VALU_DEP_1) | instskip(NEXT) | instid1(VALU_DEP_1)
	v_add3_u32 v8, v7, v8, 0x7fff
	v_and_b32_e32 v8, 0xffff0000, v8
	v_cmp_o_f32_e32 vcc_lo, v7, v7
	s_delay_alu instid0(VALU_DEP_2)
	v_dual_cndmask_b32 v8, 0x7fc00000, v8 :: v_dual_lshlrev_b32 v7, 2, v9
	ds_bpermute_b32 v9, v7, v8
	s_and_saveexec_b32 s4, s1
	s_cbranch_execz .LBB3_18
; %bb.17:                               ;   in Loop: Header=BB3_5 Depth=1
	s_waitcnt lgkmcnt(0)
	v_bfe_u32 v10, v9, 16, 1
	v_cmp_o_f32_e32 vcc_lo, v9, v9
	s_delay_alu instid0(VALU_DEP_2) | instskip(NEXT) | instid1(VALU_DEP_1)
	v_add3_u32 v10, v9, v10, 0x7fff
	v_and_b32_e32 v10, 0xffff0000, v10
	s_delay_alu instid0(VALU_DEP_1) | instskip(NEXT) | instid1(VALU_DEP_1)
	v_cndmask_b32_e32 v9, 0x7fc00000, v10, vcc_lo
	v_add_f32_e32 v8, v9, v8
	s_delay_alu instid0(VALU_DEP_1) | instskip(SKIP_1) | instid1(VALU_DEP_2)
	v_bfe_u32 v9, v8, 16, 1
	v_cmp_o_f32_e32 vcc_lo, v8, v8
	v_add3_u32 v9, v8, v9, 0x7fff
	s_delay_alu instid0(VALU_DEP_1) | instskip(NEXT) | instid1(VALU_DEP_1)
	v_lshrrev_b32_e32 v9, 16, v9
	v_cndmask_b32_e32 v8, 0x7fc0, v9, vcc_lo
	ds_store_b16 v14, v8
.LBB3_18:                               ;   in Loop: Header=BB3_5 Depth=1
	s_or_b32 exec_lo, exec_lo, s4
	s_waitcnt lgkmcnt(0)
	s_barrier
	buffer_gl0_inv
	s_clause 0x1
	s_load_b32 s4, s[14:15], 0xc
	s_load_b32 s25, s[14:15], 0x0
	v_mov_b32_e32 v8, 0
	s_waitcnt lgkmcnt(0)
	s_bfe_u32 s5, s4, 0xb0005
	s_delay_alu instid0(SALU_CYCLE_1)
	v_cmp_gt_u32_e32 vcc_lo, s5, v0
	s_and_saveexec_b32 s5, vcc_lo
	s_cbranch_execz .LBB3_20
; %bb.19:                               ;   in Loop: Header=BB3_5 Depth=1
	ds_load_u16 v8, v13
.LBB3_20:                               ;   in Loop: Header=BB3_5 Depth=1
	s_or_b32 exec_lo, exec_lo, s5
	s_and_saveexec_b32 s5, s0
	s_cbranch_execz .LBB3_22
; %bb.21:                               ;   in Loop: Header=BB3_5 Depth=1
	s_waitcnt lgkmcnt(0)
	v_lshlrev_b32_e32 v8, 16, v8
	ds_bpermute_b32 v3, v3, v8
	s_waitcnt lgkmcnt(0)
	v_bfe_u32 v9, v3, 16, 1
	v_cmp_o_f32_e32 vcc_lo, v3, v3
	s_delay_alu instid0(VALU_DEP_2) | instskip(NEXT) | instid1(VALU_DEP_1)
	v_add3_u32 v9, v3, v9, 0x7fff
	v_and_b32_e32 v9, 0xffff0000, v9
	s_delay_alu instid0(VALU_DEP_1) | instskip(NEXT) | instid1(VALU_DEP_1)
	v_cndmask_b32_e32 v3, 0x7fc00000, v9, vcc_lo
	v_add_f32_e32 v3, v3, v8
	s_delay_alu instid0(VALU_DEP_1) | instskip(SKIP_1) | instid1(VALU_DEP_2)
	v_bfe_u32 v8, v3, 16, 1
	v_cmp_o_f32_e32 vcc_lo, v3, v3
	v_add3_u32 v8, v3, v8, 0x7fff
	s_delay_alu instid0(VALU_DEP_1) | instskip(NEXT) | instid1(VALU_DEP_1)
	v_and_b32_e32 v8, 0xffff0000, v8
	v_cndmask_b32_e32 v3, 0x7fc00000, v8, vcc_lo
	ds_bpermute_b32 v4, v4, v3
	s_waitcnt lgkmcnt(0)
	v_bfe_u32 v8, v4, 16, 1
	v_cmp_o_f32_e32 vcc_lo, v4, v4
	s_delay_alu instid0(VALU_DEP_2) | instskip(NEXT) | instid1(VALU_DEP_1)
	v_add3_u32 v8, v4, v8, 0x7fff
	v_and_b32_e32 v8, 0xffff0000, v8
	s_delay_alu instid0(VALU_DEP_1) | instskip(NEXT) | instid1(VALU_DEP_1)
	v_cndmask_b32_e32 v4, 0x7fc00000, v8, vcc_lo
	v_add_f32_e32 v3, v4, v3
	s_delay_alu instid0(VALU_DEP_1) | instskip(SKIP_1) | instid1(VALU_DEP_2)
	v_bfe_u32 v4, v3, 16, 1
	v_cmp_o_f32_e32 vcc_lo, v3, v3
	v_add3_u32 v4, v3, v4, 0x7fff
	s_delay_alu instid0(VALU_DEP_1) | instskip(NEXT) | instid1(VALU_DEP_1)
	v_and_b32_e32 v4, 0xffff0000, v4
	v_cndmask_b32_e32 v3, 0x7fc00000, v4, vcc_lo
	;; [unrolled: 17-line block ×3, first 2 shown]
	ds_bpermute_b32 v4, v6, v3
	s_waitcnt lgkmcnt(0)
	v_bfe_u32 v5, v4, 16, 1
	v_cmp_o_f32_e32 vcc_lo, v4, v4
	s_delay_alu instid0(VALU_DEP_2) | instskip(NEXT) | instid1(VALU_DEP_1)
	v_add3_u32 v5, v4, v5, 0x7fff
	v_and_b32_e32 v5, 0xffff0000, v5
	s_delay_alu instid0(VALU_DEP_1) | instskip(NEXT) | instid1(VALU_DEP_1)
	v_cndmask_b32_e32 v4, 0x7fc00000, v5, vcc_lo
	v_add_f32_e32 v3, v4, v3
	s_delay_alu instid0(VALU_DEP_1) | instskip(NEXT) | instid1(VALU_DEP_1)
	v_bfe_u32 v4, v3, 16, 1
	v_add3_u32 v4, v3, v4, 0x7fff
	s_delay_alu instid0(VALU_DEP_1) | instskip(SKIP_1) | instid1(VALU_DEP_2)
	v_and_b32_e32 v4, 0xffff0000, v4
	v_cmp_o_f32_e32 vcc_lo, v3, v3
	v_cndmask_b32_e32 v3, 0x7fc00000, v4, vcc_lo
	ds_bpermute_b32 v4, v7, v3
	s_waitcnt lgkmcnt(0)
	v_bfe_u32 v5, v4, 16, 1
	v_cmp_o_f32_e32 vcc_lo, v4, v4
	s_delay_alu instid0(VALU_DEP_2) | instskip(NEXT) | instid1(VALU_DEP_1)
	v_add3_u32 v5, v4, v5, 0x7fff
	v_and_b32_e32 v5, 0xffff0000, v5
	s_delay_alu instid0(VALU_DEP_1) | instskip(NEXT) | instid1(VALU_DEP_1)
	v_cndmask_b32_e32 v4, 0x7fc00000, v5, vcc_lo
	v_add_f32_e32 v3, v4, v3
	s_delay_alu instid0(VALU_DEP_1) | instskip(SKIP_1) | instid1(VALU_DEP_2)
	v_bfe_u32 v4, v3, 16, 1
	v_cmp_o_f32_e32 vcc_lo, v3, v3
	v_add3_u32 v4, v3, v4, 0x7fff
	s_delay_alu instid0(VALU_DEP_1) | instskip(NEXT) | instid1(VALU_DEP_1)
	v_lshrrev_b32_e32 v4, 16, v4
	v_cndmask_b32_e32 v8, 0x7fc0, v4, vcc_lo
.LBB3_22:                               ;   in Loop: Header=BB3_5 Depth=1
	s_or_b32 exec_lo, exec_lo, s5
	s_mov_b32 s5, -1
	s_mov_b32 s29, -1
                                        ; implicit-def: $sgpr27
                                        ; implicit-def: $sgpr26
	s_and_saveexec_b32 s28, s2
	s_cbranch_execz .LBB3_26
; %bb.23:                               ;   in Loop: Header=BB3_5 Depth=1
	v_lshlrev_b32_e32 v3, 16, v15
	s_mov_b32 s26, 0
	s_mov_b32 s29, 0
	s_mov_b32 s27, exec_lo
	s_delay_alu instid0(VALU_DEP_1)
	v_cmpx_ngt_f32_e32 0, v3
	s_cbranch_execz .LBB3_25
; %bb.24:                               ;   in Loop: Header=BB3_5 Depth=1
	s_mov_b32 s29, exec_lo
	s_waitcnt lgkmcnt(0)
	ds_store_b16 v2, v8
.LBB3_25:                               ;   in Loop: Header=BB3_5 Depth=1
	s_or_b32 exec_lo, exec_lo, s27
	s_mov_b32 s27, -1
	s_or_not1_b32 s29, s29, exec_lo
.LBB3_26:                               ;   in Loop: Header=BB3_5 Depth=1
	s_or_b32 exec_lo, exec_lo, s28
	s_and_saveexec_b32 s28, s29
	s_cbranch_execz .LBB3_3
; %bb.27:                               ;   in Loop: Header=BB3_5 Depth=1
	s_waitcnt lgkmcnt(0)
	s_barrier
	buffer_gl0_inv
	ds_load_u16 v3, v2
	s_waitcnt lgkmcnt(0)
	v_lshlrev_b32_e32 v16, 16, v3
	s_delay_alu instid0(VALU_DEP_1) | instskip(SKIP_1) | instid1(SALU_CYCLE_1)
	v_cmp_lt_f32_e32 vcc_lo, 0, v16
	s_and_b32 s5, vcc_lo, s20
	s_and_saveexec_b32 s29, s5
	s_cbranch_execz .LBB3_2
; %bb.28:                               ;   in Loop: Header=BB3_5 Depth=1
	s_and_b32 s30, s4, 0xffff
	s_mov_b32 s5, exec_lo
	v_add_co_u32 v3, s4, v0, s30
	s_delay_alu instid0(VALU_DEP_1) | instskip(NEXT) | instid1(VALU_DEP_1)
	v_add_co_ci_u32_e64 v4, null, 0, 0, s4
	v_cmp_gt_i64_e64 s4, s[12:13], v[3:4]
	s_delay_alu instid0(VALU_DEP_1) | instskip(SKIP_2) | instid1(VALU_DEP_2)
	v_cndmask_b32_e64 v6, v3, s12, s4
	v_cndmask_b32_e64 v7, 0, 1, s4
	;; [unrolled: 1-line block ×3, first 2 shown]
	v_sub_co_u32 v6, vcc_lo, v6, v7
	s_delay_alu instid0(VALU_DEP_2) | instskip(NEXT) | instid1(VALU_DEP_2)
	v_subrev_co_ci_u32_e32 v5, vcc_lo, 0, v5, vcc_lo
	v_sub_co_u32 v6, vcc_lo, v6, v3
	s_delay_alu instid0(VALU_DEP_2) | instskip(NEXT) | instid1(VALU_DEP_1)
	v_sub_co_ci_u32_e32 v3, vcc_lo, v5, v4, vcc_lo
                                        ; implicit-def: $vgpr4_vgpr5
	v_cmpx_ne_u64_e32 0, v[2:3]
	s_xor_b32 s31, exec_lo, s5
	s_cbranch_execz .LBB3_30
; %bb.29:                               ;   in Loop: Header=BB3_5 Depth=1
	v_cvt_f32_u32_e32 v4, s30
	s_sub_u32 s5, 0, s30
	s_subb_u32 s33, 0, 0
	s_delay_alu instid0(VALU_DEP_1) | instskip(NEXT) | instid1(VALU_DEP_1)
	v_fmac_f32_e64 v4, 0, 0x4f800000
	v_rcp_f32_e32 v4, v4
	s_waitcnt_depctr 0xfff
	v_mul_f32_e32 v4, 0x5f7ffffc, v4
	s_delay_alu instid0(VALU_DEP_1) | instskip(NEXT) | instid1(VALU_DEP_1)
	v_mul_f32_e32 v5, 0x2f800000, v4
	v_trunc_f32_e32 v5, v5
	s_delay_alu instid0(VALU_DEP_1) | instskip(SKIP_1) | instid1(VALU_DEP_2)
	v_fmac_f32_e32 v4, 0xcf800000, v5
	v_cvt_u32_f32_e32 v5, v5
	v_cvt_u32_f32_e32 v4, v4
	s_delay_alu instid0(VALU_DEP_2) | instskip(NEXT) | instid1(VALU_DEP_2)
	v_mul_lo_u32 v7, s5, v5
	v_mul_hi_u32 v8, s5, v4
	v_mul_lo_u32 v9, s33, v4
	s_delay_alu instid0(VALU_DEP_2) | instskip(SKIP_1) | instid1(VALU_DEP_2)
	v_add_nc_u32_e32 v7, v8, v7
	v_mul_lo_u32 v8, s5, v4
	v_add_nc_u32_e32 v7, v7, v9
	s_delay_alu instid0(VALU_DEP_2) | instskip(NEXT) | instid1(VALU_DEP_2)
	v_mul_hi_u32 v9, v4, v8
	v_mul_lo_u32 v10, v4, v7
	v_mul_hi_u32 v17, v4, v7
	v_mul_hi_u32 v18, v5, v8
	v_mul_lo_u32 v8, v5, v8
	v_mul_hi_u32 v19, v5, v7
	v_mul_lo_u32 v7, v5, v7
	v_add_co_u32 v9, vcc_lo, v9, v10
	v_add_co_ci_u32_e32 v10, vcc_lo, 0, v17, vcc_lo
	s_delay_alu instid0(VALU_DEP_2) | instskip(NEXT) | instid1(VALU_DEP_2)
	v_add_co_u32 v8, vcc_lo, v9, v8
	v_add_co_ci_u32_e32 v8, vcc_lo, v10, v18, vcc_lo
	v_add_co_ci_u32_e32 v9, vcc_lo, 0, v19, vcc_lo
	s_delay_alu instid0(VALU_DEP_2) | instskip(NEXT) | instid1(VALU_DEP_2)
	v_add_co_u32 v7, vcc_lo, v8, v7
	v_add_co_ci_u32_e32 v8, vcc_lo, 0, v9, vcc_lo
	s_delay_alu instid0(VALU_DEP_2) | instskip(NEXT) | instid1(VALU_DEP_2)
	v_add_co_u32 v4, vcc_lo, v4, v7
	v_add_co_ci_u32_e32 v5, vcc_lo, v5, v8, vcc_lo
	s_delay_alu instid0(VALU_DEP_2) | instskip(SKIP_1) | instid1(VALU_DEP_3)
	v_mul_hi_u32 v7, s5, v4
	v_mul_lo_u32 v9, s33, v4
	v_mul_lo_u32 v8, s5, v5
	s_delay_alu instid0(VALU_DEP_1) | instskip(SKIP_1) | instid1(VALU_DEP_2)
	v_add_nc_u32_e32 v7, v7, v8
	v_mul_lo_u32 v8, s5, v4
	v_add_nc_u32_e32 v7, v7, v9
	s_delay_alu instid0(VALU_DEP_2) | instskip(NEXT) | instid1(VALU_DEP_2)
	v_mul_hi_u32 v9, v4, v8
	v_mul_lo_u32 v10, v4, v7
	v_mul_hi_u32 v17, v4, v7
	v_mul_hi_u32 v18, v5, v8
	v_mul_lo_u32 v8, v5, v8
	v_mul_hi_u32 v19, v5, v7
	v_mul_lo_u32 v7, v5, v7
	v_add_co_u32 v9, vcc_lo, v9, v10
	v_add_co_ci_u32_e32 v10, vcc_lo, 0, v17, vcc_lo
	s_delay_alu instid0(VALU_DEP_2) | instskip(NEXT) | instid1(VALU_DEP_2)
	v_add_co_u32 v8, vcc_lo, v9, v8
	v_add_co_ci_u32_e32 v8, vcc_lo, v10, v18, vcc_lo
	v_add_co_ci_u32_e32 v9, vcc_lo, 0, v19, vcc_lo
	s_delay_alu instid0(VALU_DEP_2) | instskip(NEXT) | instid1(VALU_DEP_2)
	v_add_co_u32 v7, vcc_lo, v8, v7
	v_add_co_ci_u32_e32 v8, vcc_lo, 0, v9, vcc_lo
	s_delay_alu instid0(VALU_DEP_2) | instskip(NEXT) | instid1(VALU_DEP_2)
	v_add_co_u32 v9, vcc_lo, v4, v7
	v_add_co_ci_u32_e32 v17, vcc_lo, v5, v8, vcc_lo
	s_delay_alu instid0(VALU_DEP_2) | instskip(SKIP_1) | instid1(VALU_DEP_3)
	v_mul_hi_u32 v18, v6, v9
	v_mad_u64_u32 v[7:8], null, v3, v9, 0
	v_mad_u64_u32 v[4:5], null, v6, v17, 0
	;; [unrolled: 1-line block ×3, first 2 shown]
	s_delay_alu instid0(VALU_DEP_2) | instskip(NEXT) | instid1(VALU_DEP_3)
	v_add_co_u32 v4, vcc_lo, v18, v4
	v_add_co_ci_u32_e32 v5, vcc_lo, 0, v5, vcc_lo
	s_delay_alu instid0(VALU_DEP_2) | instskip(NEXT) | instid1(VALU_DEP_2)
	v_add_co_u32 v4, vcc_lo, v4, v7
	v_add_co_ci_u32_e32 v4, vcc_lo, v5, v8, vcc_lo
	v_add_co_ci_u32_e32 v5, vcc_lo, 0, v10, vcc_lo
	s_delay_alu instid0(VALU_DEP_2) | instskip(NEXT) | instid1(VALU_DEP_2)
	v_add_co_u32 v9, vcc_lo, v4, v9
	v_add_co_ci_u32_e32 v10, vcc_lo, 0, v5, vcc_lo
	s_delay_alu instid0(VALU_DEP_2) | instskip(NEXT) | instid1(VALU_DEP_1)
	v_mad_u64_u32 v[4:5], null, s30, v9, 0
	v_mad_u64_u32 v[7:8], null, s30, v10, v[5:6]
	s_delay_alu instid0(VALU_DEP_2) | instskip(NEXT) | instid1(VALU_DEP_2)
	v_sub_co_u32 v4, vcc_lo, v6, v4
	v_sub_co_ci_u32_e32 v3, vcc_lo, v3, v7, vcc_lo
	s_delay_alu instid0(VALU_DEP_2) | instskip(NEXT) | instid1(VALU_DEP_2)
	v_sub_co_u32 v5, vcc_lo, v4, s30
	v_subrev_co_ci_u32_e32 v6, vcc_lo, 0, v3, vcc_lo
	s_delay_alu instid0(VALU_DEP_2)
	v_cmp_le_u32_e32 vcc_lo, s30, v5
	v_cmp_eq_u32_e64 s5, 0, v3
	v_cndmask_b32_e64 v5, 0, -1, vcc_lo
	v_add_co_u32 v7, vcc_lo, v9, 2
	v_add_co_ci_u32_e32 v8, vcc_lo, 0, v10, vcc_lo
	v_cmp_le_u32_e32 vcc_lo, s30, v4
	v_cndmask_b32_e64 v4, 0, -1, vcc_lo
	v_cmp_eq_u32_e32 vcc_lo, 0, v6
	s_delay_alu instid0(VALU_DEP_2) | instskip(SKIP_3) | instid1(VALU_DEP_3)
	v_cndmask_b32_e64 v3, -1, v4, s5
	v_cndmask_b32_e32 v5, -1, v5, vcc_lo
	v_add_co_u32 v6, vcc_lo, v9, 1
	v_add_co_ci_u32_e32 v17, vcc_lo, 0, v10, vcc_lo
	v_cmp_ne_u32_e32 vcc_lo, 0, v5
	s_delay_alu instid0(VALU_DEP_2) | instskip(NEXT) | instid1(VALU_DEP_4)
	v_cndmask_b32_e32 v4, v17, v8, vcc_lo
	v_cndmask_b32_e32 v6, v6, v7, vcc_lo
	v_cmp_ne_u32_e32 vcc_lo, 0, v3
	s_delay_alu instid0(VALU_DEP_2)
	v_dual_cndmask_b32 v5, v10, v4 :: v_dual_cndmask_b32 v4, v9, v6
                                        ; implicit-def: $vgpr6
.LBB3_30:                               ;   in Loop: Header=BB3_5 Depth=1
	s_and_not1_saveexec_b32 s5, s31
	s_cbranch_execz .LBB3_32
; %bb.31:                               ;   in Loop: Header=BB3_5 Depth=1
	v_cvt_f32_u32_e32 v3, s30
	s_sub_i32 s31, 0, s30
	s_delay_alu instid0(VALU_DEP_1) | instskip(SKIP_2) | instid1(VALU_DEP_1)
	v_rcp_iflag_f32_e32 v3, v3
	s_waitcnt_depctr 0xfff
	v_mul_f32_e32 v3, 0x4f7ffffe, v3
	v_cvt_u32_f32_e32 v3, v3
	s_delay_alu instid0(VALU_DEP_1) | instskip(NEXT) | instid1(VALU_DEP_1)
	v_mul_lo_u32 v4, s31, v3
	v_mul_hi_u32 v4, v3, v4
	s_delay_alu instid0(VALU_DEP_1) | instskip(NEXT) | instid1(VALU_DEP_1)
	v_add_nc_u32_e32 v3, v3, v4
	v_mul_hi_u32 v3, v6, v3
	s_delay_alu instid0(VALU_DEP_1) | instskip(SKIP_1) | instid1(VALU_DEP_2)
	v_mul_lo_u32 v4, v3, s30
	v_add_nc_u32_e32 v5, 1, v3
	v_sub_nc_u32_e32 v4, v6, v4
	s_delay_alu instid0(VALU_DEP_1) | instskip(SKIP_1) | instid1(VALU_DEP_2)
	v_subrev_nc_u32_e32 v6, s30, v4
	v_cmp_le_u32_e32 vcc_lo, s30, v4
	v_dual_cndmask_b32 v4, v4, v6 :: v_dual_cndmask_b32 v3, v3, v5
	s_delay_alu instid0(VALU_DEP_1) | instskip(NEXT) | instid1(VALU_DEP_2)
	v_cmp_le_u32_e32 vcc_lo, s30, v4
	v_add_nc_u32_e32 v5, 1, v3
	s_delay_alu instid0(VALU_DEP_1)
	v_dual_cndmask_b32 v4, v3, v5 :: v_dual_mov_b32 v5, v2
.LBB3_32:                               ;   in Loop: Header=BB3_5 Depth=1
	s_or_b32 exec_lo, exec_lo, s5
	v_cndmask_b32_e64 v3, 1, 2, s4
	s_cmp_eq_u32 s30, 1
	v_dual_mov_b32 v8, v1 :: v_dual_mov_b32 v7, v0
	s_cselect_b32 s4, -1, 0
	s_delay_alu instid0(VALU_DEP_2) | instskip(SKIP_1) | instid1(VALU_DEP_1)
	v_add_co_u32 v3, vcc_lo, v3, v4
	v_add_co_ci_u32_e32 v4, vcc_lo, 0, v5, vcc_lo
	v_cmp_lt_u64_e32 vcc_lo, 1, v[3:4]
	s_and_b32 s31, vcc_lo, s4
	s_mov_b32 s4, -1
	s_and_saveexec_b32 s5, s31
	s_cbranch_execz .LBB3_36
; %bb.33:                               ;   in Loop: Header=BB3_5 Depth=1
	s_mul_i32 s4, s18, s13
	s_mul_hi_u32 s31, s18, s12
	s_mul_i32 s34, s18, s12
	s_add_i32 s4, s31, s4
	s_mul_i32 s31, s19, s12
	v_dual_mov_b32 v6, v4 :: v_dual_and_b32 v5, -2, v3
	s_add_i32 s35, s4, s31
	s_delay_alu instid0(SALU_CYCLE_1) | instskip(NEXT) | instid1(SALU_CYCLE_1)
	s_lshl_b64 s[34:35], s[34:35], 1
	s_add_u32 s4, s8, s34
	s_addc_u32 s31, s9, s35
	v_add_co_u32 v7, s4, s4, v12
	s_delay_alu instid0(VALU_DEP_1)
	v_add_co_ci_u32_e64 v8, null, s31, 0, s4
	v_dual_mov_b32 v10, v6 :: v_dual_mov_b32 v9, v5
	s_lshl_b32 s33, s30, 2
	s_mov_b32 s31, 0
.LBB3_34:                               ;   Parent Loop BB3_5 Depth=1
                                        ; =>  This Inner Loop Header: Depth=2
	global_load_b32 v17, v[7:8], off
	s_waitcnt vmcnt(0)
	v_lshlrev_b32_e32 v18, 16, v17
	v_and_b32_e32 v17, 0xffff0000, v17
	s_delay_alu instid0(VALU_DEP_2) | instskip(NEXT) | instid1(VALU_DEP_2)
	v_div_scale_f32 v19, null, v16, v16, v18
	v_div_scale_f32 v20, null, v16, v16, v17
	v_div_scale_f32 v25, vcc_lo, v18, v16, v18
	s_delay_alu instid0(VALU_DEP_3) | instskip(NEXT) | instid1(VALU_DEP_2)
	v_rcp_f32_e32 v21, v19
	v_rcp_f32_e32 v22, v20
	s_waitcnt_depctr 0xfff
	v_fma_f32 v23, -v19, v21, 1.0
	v_fma_f32 v24, -v20, v22, 1.0
	s_delay_alu instid0(VALU_DEP_1) | instskip(SKIP_1) | instid1(VALU_DEP_1)
	v_dual_fmac_f32 v22, v24, v22 :: v_dual_fmac_f32 v21, v23, v21
	v_div_scale_f32 v23, s4, v17, v16, v17
	v_mul_f32_e32 v26, v23, v22
	s_delay_alu instid0(VALU_DEP_1) | instskip(NEXT) | instid1(VALU_DEP_1)
	v_fma_f32 v28, -v20, v26, v23
	v_fmac_f32_e32 v26, v28, v22
	v_mul_f32_e32 v24, v25, v21
	s_delay_alu instid0(VALU_DEP_2) | instskip(NEXT) | instid1(VALU_DEP_2)
	v_fma_f32 v20, -v20, v26, v23
	v_fma_f32 v27, -v19, v24, v25
	s_delay_alu instid0(VALU_DEP_1) | instskip(NEXT) | instid1(VALU_DEP_1)
	v_fmac_f32_e32 v24, v27, v21
	v_fma_f32 v19, -v19, v24, v25
	s_delay_alu instid0(VALU_DEP_1) | instskip(SKIP_2) | instid1(VALU_DEP_2)
	v_div_fmas_f32 v19, v19, v21, v24
	s_mov_b32 vcc_lo, s4
	v_div_fmas_f32 v20, v20, v22, v26
	v_div_fixup_f32 v18, v19, v16, v18
	s_delay_alu instid0(VALU_DEP_2) | instskip(NEXT) | instid1(VALU_DEP_2)
	v_div_fixup_f32 v17, v20, v16, v17
	v_bfe_u32 v19, v18, 16, 1
	v_cmp_o_f32_e32 vcc_lo, v18, v18
	s_delay_alu instid0(VALU_DEP_3) | instskip(NEXT) | instid1(VALU_DEP_3)
	v_bfe_u32 v20, v17, 16, 1
	v_add3_u32 v19, v18, v19, 0x7fff
	s_delay_alu instid0(VALU_DEP_2) | instskip(NEXT) | instid1(VALU_DEP_2)
	v_add3_u32 v20, v17, v20, 0x7fff
	v_lshrrev_b32_e32 v19, 16, v19
	s_delay_alu instid0(VALU_DEP_2) | instskip(NEXT) | instid1(VALU_DEP_2)
	v_lshrrev_b32_e32 v20, 16, v20
	v_cndmask_b32_e32 v18, 0x7fc0, v19, vcc_lo
	v_cmp_o_f32_e32 vcc_lo, v17, v17
	s_delay_alu instid0(VALU_DEP_3) | instskip(SKIP_2) | instid1(VALU_DEP_3)
	v_cndmask_b32_e32 v17, 0x7fc0, v20, vcc_lo
	v_add_co_u32 v9, vcc_lo, v9, -2
	v_add_co_ci_u32_e32 v10, vcc_lo, -1, v10, vcc_lo
	v_perm_b32 v17, v17, v18, 0x5040100
	s_delay_alu instid0(VALU_DEP_2) | instskip(SKIP_2) | instid1(VALU_DEP_1)
	v_cmp_eq_u64_e32 vcc_lo, 0, v[9:10]
	global_store_b32 v[7:8], v17, off
	v_add_co_u32 v7, s4, v7, s33
	v_add_co_ci_u32_e64 v8, s4, 0, v8, s4
	s_or_b32 s31, vcc_lo, s31
	s_delay_alu instid0(SALU_CYCLE_1)
	s_and_not1_b32 exec_lo, exec_lo, s31
	s_cbranch_execnz .LBB3_34
; %bb.35:                               ;   in Loop: Header=BB3_5 Depth=1
	s_or_b32 exec_lo, exec_lo, s31
	v_mad_u64_u32 v[7:8], null, v5, s30, v[0:1]
	v_cmp_ne_u64_e32 vcc_lo, v[3:4], v[5:6]
	s_or_not1_b32 s4, vcc_lo, exec_lo
	s_delay_alu instid0(VALU_DEP_2) | instskip(NEXT) | instid1(VALU_DEP_1)
	v_mad_u64_u32 v[9:10], null, v6, s30, v[8:9]
	v_mov_b32_e32 v8, v9
.LBB3_36:                               ;   in Loop: Header=BB3_5 Depth=1
	s_or_b32 exec_lo, exec_lo, s5
	s_delay_alu instid0(SALU_CYCLE_1)
	s_and_b32 exec_lo, exec_lo, s4
	s_cbranch_execz .LBB3_2
; %bb.37:                               ;   in Loop: Header=BB3_5 Depth=1
	s_mul_i32 s4, s16, s19
	s_mul_hi_u32 s5, s16, s18
	v_lshlrev_b64 v[3:4], 1, v[7:8]
	s_add_i32 s4, s5, s4
	s_mul_i32 s5, s17, s18
	s_mul_i32 s31, s16, s18
	s_add_i32 s4, s4, s5
	s_add_u32 s5, s8, s31
	s_addc_u32 s4, s9, s4
	v_add_co_u32 v3, vcc_lo, s5, v3
	v_add_co_ci_u32_e32 v4, vcc_lo, s4, v4, vcc_lo
	s_lshl_b32 s5, s30, 1
	s_mov_b32 s31, 0
	s_set_inst_prefetch_distance 0x1
	.p2align	6
.LBB3_38:                               ;   Parent Loop BB3_5 Depth=1
                                        ; =>  This Inner Loop Header: Depth=2
	global_load_u16 v5, v[3:4], off
	s_waitcnt vmcnt(0)
	v_lshlrev_b32_e32 v5, 16, v5
	s_delay_alu instid0(VALU_DEP_1) | instskip(SKIP_1) | instid1(VALU_DEP_2)
	v_div_scale_f32 v6, null, v16, v16, v5
	v_div_scale_f32 v17, vcc_lo, v5, v16, v5
	v_rcp_f32_e32 v9, v6
	s_waitcnt_depctr 0xfff
	v_fma_f32 v10, -v6, v9, 1.0
	s_delay_alu instid0(VALU_DEP_1) | instskip(NEXT) | instid1(VALU_DEP_1)
	v_fmac_f32_e32 v9, v10, v9
	v_mul_f32_e32 v10, v17, v9
	s_delay_alu instid0(VALU_DEP_1) | instskip(NEXT) | instid1(VALU_DEP_1)
	v_fma_f32 v18, -v6, v10, v17
	v_fmac_f32_e32 v10, v18, v9
	s_delay_alu instid0(VALU_DEP_1) | instskip(NEXT) | instid1(VALU_DEP_1)
	v_fma_f32 v6, -v6, v10, v17
	v_div_fmas_f32 v6, v6, v9, v10
	v_add_co_u32 v7, vcc_lo, v7, s30
	v_add_co_ci_u32_e32 v8, vcc_lo, 0, v8, vcc_lo
	s_delay_alu instid0(VALU_DEP_3) | instskip(NEXT) | instid1(VALU_DEP_1)
	v_div_fixup_f32 v5, v6, v16, v5
	v_bfe_u32 v6, v5, 16, 1
	v_cmp_o_f32_e32 vcc_lo, v5, v5
	s_delay_alu instid0(VALU_DEP_2) | instskip(NEXT) | instid1(VALU_DEP_1)
	v_add3_u32 v6, v5, v6, 0x7fff
	v_lshrrev_b32_e32 v6, 16, v6
	s_delay_alu instid0(VALU_DEP_1) | instskip(SKIP_3) | instid1(VALU_DEP_1)
	v_cndmask_b32_e32 v5, 0x7fc0, v6, vcc_lo
	v_cmp_le_i64_e32 vcc_lo, s[12:13], v[7:8]
	global_store_b16 v[3:4], v5, off
	v_add_co_u32 v3, s4, v3, s5
	v_add_co_ci_u32_e64 v4, s4, 0, v4, s4
	s_or_b32 s31, vcc_lo, s31
	s_delay_alu instid0(SALU_CYCLE_1)
	s_and_not1_b32 exec_lo, exec_lo, s31
	s_cbranch_execnz .LBB3_38
	s_branch .LBB3_2
.LBB3_39:
	s_or_b32 exec_lo, exec_lo, s7
	s_xor_b32 s1, s21, -1
	s_mov_b32 s0, 0
	s_and_saveexec_b32 s2, s1
	s_delay_alu instid0(SALU_CYCLE_1)
	s_xor_b32 s1, exec_lo, s2
	s_cbranch_execz .LBB3_42
; %bb.40:
	s_and_saveexec_b32 s2, s6
	s_delay_alu instid0(SALU_CYCLE_1)
	s_xor_b32 s2, exec_lo, s2
	s_cbranch_execnz .LBB3_48
.LBB3_41:
	s_or_b32 exec_lo, exec_lo, s2
	s_delay_alu instid0(SALU_CYCLE_1)
	s_and_b32 s0, s0, exec_lo
.LBB3_42:
	s_and_not1_saveexec_b32 s1, s1
	s_cbranch_execnz .LBB3_46
; %bb.43:
	s_or_b32 exec_lo, exec_lo, s1
	s_and_saveexec_b32 s1, s0
.LBB3_44:
	; divergent unreachable
.LBB3_45:
	s_nop 0
	s_sendmsg sendmsg(MSG_DEALLOC_VGPRS)
	s_endpgm
.LBB3_46:
	s_cbranch_execnz .LBB3_50
; %bb.47:
	s_or_b32 s0, s0, exec_lo
	s_or_b32 exec_lo, exec_lo, s1
	s_and_saveexec_b32 s1, s0
	s_cbranch_execnz .LBB3_44
	s_branch .LBB3_45
.LBB3_48:
	s_cbranch_execnz .LBB3_52
; %bb.49:
	s_mov_b32 s0, exec_lo
	s_branch .LBB3_41
.LBB3_50:
	s_trap 2
	s_sendmsg_rtn_b32 s0, sendmsg(MSG_RTN_GET_DOORBELL)
	s_mov_b32 ttmp2, m0
	s_waitcnt lgkmcnt(0)
	s_and_b32 s0, s0, 0x3ff
	s_delay_alu instid0(SALU_CYCLE_1) | instskip(NEXT) | instid1(SALU_CYCLE_1)
	s_bitset1_b32 s0, 10
	s_mov_b32 m0, s0
	s_sendmsg sendmsg(MSG_INTERRUPT)
	s_mov_b32 m0, ttmp2
.LBB3_51:                               ; =>This Inner Loop Header: Depth=1
	s_sethalt 5
	s_branch .LBB3_51
.LBB3_52:
	s_trap 2
	s_sendmsg_rtn_b32 s0, sendmsg(MSG_RTN_GET_DOORBELL)
	s_mov_b32 ttmp2, m0
	s_waitcnt lgkmcnt(0)
	s_and_b32 s0, s0, 0x3ff
	s_delay_alu instid0(SALU_CYCLE_1) | instskip(NEXT) | instid1(SALU_CYCLE_1)
	s_bitset1_b32 s0, 10
	s_mov_b32 m0, s0
	s_sendmsg sendmsg(MSG_INTERRUPT)
	s_mov_b32 m0, ttmp2
.LBB3_53:                               ; =>This Inner Loop Header: Depth=1
	s_sethalt 5
	s_branch .LBB3_53
	.section	.rodata,"a",@progbits
	.p2align	6, 0x0
	.amdhsa_kernel _ZN2at6native12_GLOBAL__N_112renormRowsL1IN3c108BFloat16EEEvPT_ll
		.amdhsa_group_segment_fixed_size 0
		.amdhsa_private_segment_fixed_size 0
		.amdhsa_kernarg_size 280
		.amdhsa_user_sgpr_count 15
		.amdhsa_user_sgpr_dispatch_ptr 0
		.amdhsa_user_sgpr_queue_ptr 0
		.amdhsa_user_sgpr_kernarg_segment_ptr 1
		.amdhsa_user_sgpr_dispatch_id 0
		.amdhsa_user_sgpr_private_segment_size 0
		.amdhsa_wavefront_size32 1
		.amdhsa_uses_dynamic_stack 0
		.amdhsa_enable_private_segment 0
		.amdhsa_system_sgpr_workgroup_id_x 1
		.amdhsa_system_sgpr_workgroup_id_y 0
		.amdhsa_system_sgpr_workgroup_id_z 0
		.amdhsa_system_sgpr_workgroup_info 0
		.amdhsa_system_vgpr_workitem_id 0
		.amdhsa_next_free_vgpr 29
		.amdhsa_next_free_sgpr 36
		.amdhsa_reserve_vcc 1
		.amdhsa_float_round_mode_32 0
		.amdhsa_float_round_mode_16_64 0
		.amdhsa_float_denorm_mode_32 3
		.amdhsa_float_denorm_mode_16_64 3
		.amdhsa_dx10_clamp 1
		.amdhsa_ieee_mode 1
		.amdhsa_fp16_overflow 0
		.amdhsa_workgroup_processor_mode 1
		.amdhsa_memory_ordered 1
		.amdhsa_forward_progress 0
		.amdhsa_shared_vgpr_count 0
		.amdhsa_exception_fp_ieee_invalid_op 0
		.amdhsa_exception_fp_denorm_src 0
		.amdhsa_exception_fp_ieee_div_zero 0
		.amdhsa_exception_fp_ieee_overflow 0
		.amdhsa_exception_fp_ieee_underflow 0
		.amdhsa_exception_fp_ieee_inexact 0
		.amdhsa_exception_int_div_zero 0
	.end_amdhsa_kernel
	.section	.text._ZN2at6native12_GLOBAL__N_112renormRowsL1IN3c108BFloat16EEEvPT_ll,"axG",@progbits,_ZN2at6native12_GLOBAL__N_112renormRowsL1IN3c108BFloat16EEEvPT_ll,comdat
.Lfunc_end3:
	.size	_ZN2at6native12_GLOBAL__N_112renormRowsL1IN3c108BFloat16EEEvPT_ll, .Lfunc_end3-_ZN2at6native12_GLOBAL__N_112renormRowsL1IN3c108BFloat16EEEvPT_ll
                                        ; -- End function
	.section	.AMDGPU.csdata,"",@progbits
; Kernel info:
; codeLenInByte = 4388
; NumSgprs: 38
; NumVgprs: 29
; ScratchSize: 0
; MemoryBound: 0
; FloatMode: 240
; IeeeMode: 1
; LDSByteSize: 0 bytes/workgroup (compile time only)
; SGPRBlocks: 4
; VGPRBlocks: 3
; NumSGPRsForWavesPerEU: 38
; NumVGPRsForWavesPerEU: 29
; Occupancy: 16
; WaveLimiterHint : 0
; COMPUTE_PGM_RSRC2:SCRATCH_EN: 0
; COMPUTE_PGM_RSRC2:USER_SGPR: 15
; COMPUTE_PGM_RSRC2:TRAP_HANDLER: 0
; COMPUTE_PGM_RSRC2:TGID_X_EN: 1
; COMPUTE_PGM_RSRC2:TGID_Y_EN: 0
; COMPUTE_PGM_RSRC2:TGID_Z_EN: 0
; COMPUTE_PGM_RSRC2:TIDIG_COMP_CNT: 0
	.section	.text._ZN2at6native12_GLOBAL__N_121sampleMultinomialOnceIddEEvPlliPKT_S6_ii,"axG",@progbits,_ZN2at6native12_GLOBAL__N_121sampleMultinomialOnceIddEEvPlliPKT_S6_ii,comdat
	.globl	_ZN2at6native12_GLOBAL__N_121sampleMultinomialOnceIddEEvPlliPKT_S6_ii ; -- Begin function _ZN2at6native12_GLOBAL__N_121sampleMultinomialOnceIddEEvPlliPKT_S6_ii
	.p2align	8
	.type	_ZN2at6native12_GLOBAL__N_121sampleMultinomialOnceIddEEvPlliPKT_S6_ii,@function
_ZN2at6native12_GLOBAL__N_121sampleMultinomialOnceIddEEvPlliPKT_S6_ii: ; @_ZN2at6native12_GLOBAL__N_121sampleMultinomialOnceIddEEvPlliPKT_S6_ii
; %bb.0:
	s_load_b128 s[8:11], s[0:1], 0x0
	s_mov_b32 s16, s15
	s_mov_b32 s17, 0
	s_waitcnt lgkmcnt(0)
	v_cmp_ge_i64_e64 s2, s[16:17], s[10:11]
	s_delay_alu instid0(VALU_DEP_1)
	s_and_b32 vcc_lo, exec_lo, s2
	s_cbranch_vccnz .LBB4_88
; %bb.1:
	s_clause 0x2
	s_load_b64 s[18:19], s[0:1], 0x28
	s_load_b32 s24, s[0:1], 0x10
	s_load_b128 s[12:15], s[0:1], 0x18
	v_dual_mov_b32 v5, 0 :: v_dual_and_b32 v2, 31, v0
	v_lshrrev_b32_e32 v3, 2, v0
	v_dual_mov_b32 v27, 1 :: v_dual_lshlrev_b32 v4, 3, v0
	s_delay_alu instid0(VALU_DEP_3)
	v_cmp_eq_u32_e64 s5, 0, v2
	v_lshl_add_u32 v22, v2, 3, 8
	v_cmp_gt_u32_e64 s2, 32, v0
	v_cmp_eq_u32_e64 s3, 0, v0
	v_cmp_ne_u32_e64 s4, 0, v0
	v_mbcnt_lo_u32_b32 v21, -1, 0
	v_dual_mov_b32 v26, 8 :: v_dual_add_nc_u32 v23, 8, v4
	v_add3_u32 v24, 8, -8, v4
	v_add_nc_u32_e32 v25, 8, v3
	s_mov_b64 s[22:23], s[16:17]
                                        ; implicit-def: $sgpr28
                                        ; implicit-def: $sgpr30
                                        ; implicit-def: $sgpr29
                                        ; implicit-def: $sgpr31
                                        ; implicit-def: $sgpr16
                                        ; implicit-def: $sgpr33
                                        ; implicit-def: $sgpr36
                                        ; implicit-def: $sgpr34
                                        ; implicit-def: $sgpr37
                                        ; implicit-def: $sgpr35
                                        ; implicit-def: $vgpr8_vgpr9
	s_waitcnt lgkmcnt(0)
	v_mul_lo_u32 v1, v0, s19
	s_ashr_i32 s25, s18, 31
	v_cmp_gt_i32_e64 s6, s24, v0
	s_add_u32 s20, s0, 48
	s_addc_u32 s21, s1, 0
	s_add_i32 s26, s24, -1
	s_delay_alu instid0(SALU_CYCLE_1) | instskip(NEXT) | instid1(VALU_DEP_2)
	s_mul_i32 s27, s19, s26
	v_ashrrev_i32_e32 v2, 31, v1
	s_delay_alu instid0(VALU_DEP_1)
	v_lshlrev_b64 v[6:7], 3, v[1:2]
	s_branch .LBB4_5
.LBB4_2:                                ;   in Loop: Header=BB4_5 Depth=1
	s_or_b32 exec_lo, exec_lo, s1
	s_add_u32 s22, s22, s39
	s_addc_u32 s23, s23, 0
	s_and_not1_b32 s42, s42, exec_lo
	v_cmp_ge_i64_e64 s0, s[22:23], s[10:11]
	s_and_not1_b32 s41, s41, exec_lo
	s_and_not1_b32 s40, s40, exec_lo
	;; [unrolled: 1-line block ×4, first 2 shown]
	s_delay_alu instid0(VALU_DEP_1)
	s_or_not1_b32 s1, s0, exec_lo
.LBB4_3:                                ;   in Loop: Header=BB4_5 Depth=1
	s_or_b32 exec_lo, exec_lo, s45
	s_delay_alu instid0(SALU_CYCLE_1)
	s_and_not1_b32 s0, s35, exec_lo
	s_and_b32 s7, s42, exec_lo
	s_and_not1_b32 s34, s34, exec_lo
	s_or_b32 s35, s0, s7
	s_and_not1_b32 s0, s37, exec_lo
	s_and_b32 s7, s41, exec_lo
	s_and_b32 s39, s40, exec_lo
	s_or_b32 s37, s0, s7
	s_or_b32 s34, s34, s39
	s_and_not1_b32 s0, s36, exec_lo
	s_and_b32 s7, s44, exec_lo
	s_and_not1_b32 s33, s33, exec_lo
	s_and_b32 s39, s43, exec_lo
	s_or_b32 s36, s0, s7
	s_or_b32 s33, s33, s39
	s_or_not1_b32 s0, s1, exec_lo
.LBB4_4:                                ;   in Loop: Header=BB4_5 Depth=1
	s_or_b32 exec_lo, exec_lo, s38
	s_delay_alu instid0(SALU_CYCLE_1) | instskip(NEXT) | instid1(SALU_CYCLE_1)
	s_and_b32 s0, exec_lo, s0
	s_or_b32 s17, s0, s17
	s_and_not1_b32 s0, s16, exec_lo
	s_and_b32 s1, s35, exec_lo
	s_and_not1_b32 s7, s31, exec_lo
	s_or_b32 s16, s0, s1
	s_and_b32 s0, s37, exec_lo
	s_and_not1_b32 s1, s29, exec_lo
	s_and_b32 s29, s34, exec_lo
	s_or_b32 s31, s7, s0
	s_or_b32 s29, s1, s29
	s_and_not1_b32 s0, s30, exec_lo
	s_and_b32 s1, s36, exec_lo
	s_and_not1_b32 s7, s28, exec_lo
	s_and_b32 s28, s33, exec_lo
	s_or_b32 s30, s0, s1
	s_or_b32 s28, s7, s28
	s_and_not1_b32 exec_lo, exec_lo, s17
	s_cbranch_execz .LBB4_73
.LBB4_5:                                ; =>This Loop Header: Depth=1
                                        ;     Child Loop BB4_14 Depth 2
                                        ;     Child Loop BB4_42 Depth 2
                                        ;       Child Loop BB4_47 Depth 3
                                        ;       Child Loop BB4_55 Depth 3
                                        ;     Child Loop BB4_62 Depth 2
	s_waitcnt lgkmcnt(0)
	v_mov_b32_e32 v1, 0
	v_mov_b32_e32 v2, 0
	s_mov_b32 s1, -1
                                        ; implicit-def: $sgpr7
                                        ; implicit-def: $sgpr38
                                        ; implicit-def: $sgpr39
                                        ; implicit-def: $sgpr41
	s_and_saveexec_b32 s0, s6
	s_cbranch_execz .LBB4_23
; %bb.6:                                ;   in Loop: Header=BB4_5 Depth=1
	s_mul_i32 s1, s22, s25
	s_mul_hi_u32 s7, s22, s18
	s_mul_i32 s38, s22, s18
	s_add_i32 s1, s7, s1
	s_mul_i32 s7, s23, s18
	s_mov_b32 s40, 0
	s_add_i32 s39, s1, s7
	s_mov_b32 s7, -1
	s_lshl_b64 s[38:39], s[38:39], 3
	s_mov_b32 s42, 0
	s_add_u32 s38, s14, s38
	s_addc_u32 s39, s15, s39
	v_add_co_u32 v1, vcc_lo, s38, v6
	v_add_co_ci_u32_e32 v2, vcc_lo, s39, v7, vcc_lo
	s_mov_b32 s44, 0
	s_mov_b32 s45, 0
	s_mov_b32 s1, exec_lo
	global_load_b64 v[8:9], v[1:2], off
	v_mov_b32_e32 v1, 0
	v_mov_b32_e32 v2, 0
	s_waitcnt vmcnt(0)
	v_cmpx_o_f64_e32 v[8:9], v[8:9]
	s_cbranch_execz .LBB4_22
; %bb.7:                                ;   in Loop: Header=BB4_5 Depth=1
	v_mov_b32_e32 v1, 0
	v_mov_b32_e32 v2, 0
	s_mov_b32 s40, -1
	s_mov_b32 s41, 0
	s_mov_b32 s43, 0
	;; [unrolled: 1-line block ×4, first 2 shown]
	s_mov_b32 s7, exec_lo
	v_cmpx_neq_f64_e64 0x7ff00000, |v[8:9]|
	s_cbranch_execz .LBB4_21
; %bb.8:                                ;   in Loop: Header=BB4_5 Depth=1
	v_mov_b32_e32 v1, 0
	v_mov_b32_e32 v2, 0
	s_mov_b32 s41, -1
	s_mov_b32 s40, exec_lo
	v_cmpx_ngt_f64_e32 0, v[8:9]
	s_cbranch_execz .LBB4_20
; %bb.9:                                ;   in Loop: Header=BB4_5 Depth=1
	v_add_f64 v[1:2], v[8:9], 0
	s_load_b32 s41, s[20:21], 0xc
	s_mov_b32 s43, -1
	s_mov_b32 s47, -1
	s_mov_b32 s49, 0
	s_waitcnt lgkmcnt(0)
	s_and_b32 s42, s41, 0xffff
	s_mov_b32 s41, exec_lo
	v_add_nc_u32_e32 v10, s42, v0
	s_delay_alu instid0(VALU_DEP_1)
	v_cmpx_gt_i32_e64 s24, v10
	s_cbranch_execz .LBB4_19
; %bb.10:                               ;   in Loop: Header=BB4_5 Depth=1
	v_mul_lo_u32 v3, s19, v10
	s_mul_i32 s45, s19, s42
                                        ; implicit-def: $sgpr43
                                        ; implicit-def: $sgpr49
                                        ; implicit-def: $sgpr47
                                        ; implicit-def: $sgpr48
                                        ; implicit-def: $sgpr46
                                        ; implicit-def: $sgpr50
                                        ; implicit-def: $sgpr52
                                        ; implicit-def: $sgpr51
                                        ; implicit-def: $sgpr54
                                        ; implicit-def: $sgpr53
                                        ; implicit-def: $sgpr55
	s_branch .LBB4_14
.LBB4_11:                               ;   in Loop: Header=BB4_14 Depth=2
	s_or_b32 exec_lo, exec_lo, s59
	s_delay_alu instid0(SALU_CYCLE_1)
	s_mov_b32 s59, exec_lo
	s_or_not1_b32 s62, s61, exec_lo
	s_xor_b32 s61, exec_lo, -1
	s_or_not1_b32 s60, s60, exec_lo
.LBB4_12:                               ;   in Loop: Header=BB4_14 Depth=2
	s_or_b32 exec_lo, exec_lo, s58
	s_delay_alu instid0(SALU_CYCLE_1)
	s_and_not1_b32 s55, s55, exec_lo
	s_and_b32 s58, s62, exec_lo
	s_and_not1_b32 s54, s54, exec_lo
	s_or_b32 s55, s55, s58
	s_and_b32 s58, s61, exec_lo
	s_and_not1_b32 s53, s53, exec_lo
	s_and_b32 s57, s57, exec_lo
	s_and_not1_b32 s51, s51, exec_lo
	s_and_b32 s59, s59, exec_lo
	s_or_b32 s54, s54, s58
	s_and_not1_b32 s52, s52, exec_lo
	s_and_not1_b32 s50, s50, exec_lo
	s_and_b32 s58, s60, exec_lo
	s_or_b32 s53, s53, s57
	s_or_b32 s51, s51, s59
	;; [unrolled: 1-line block ×4, first 2 shown]
.LBB4_13:                               ;   in Loop: Header=BB4_14 Depth=2
	s_or_b32 exec_lo, exec_lo, s56
	s_xor_b32 s56, s55, -1
	s_and_b32 s57, exec_lo, s50
	s_delay_alu instid0(SALU_CYCLE_1)
	s_or_b32 s44, s57, s44
	s_and_not1_b32 s46, s46, exec_lo
	s_and_b32 s57, s53, exec_lo
	s_and_not1_b32 s48, s48, exec_lo
	s_or_b32 s46, s46, s57
	s_and_b32 s57, s54, exec_lo
	s_and_not1_b32 s47, s47, exec_lo
	s_and_b32 s58, s51, exec_lo
	s_or_b32 s48, s48, s57
	s_and_not1_b32 s49, s49, exec_lo
	s_and_b32 s57, s52, exec_lo
	s_and_not1_b32 s43, s43, exec_lo
	s_and_b32 s56, s56, exec_lo
	s_or_b32 s47, s47, s58
	s_or_b32 s49, s49, s57
	;; [unrolled: 1-line block ×3, first 2 shown]
	s_and_not1_b32 exec_lo, exec_lo, s44
	s_cbranch_execz .LBB4_18
.LBB4_14:                               ;   Parent Loop BB4_5 Depth=1
                                        ; =>  This Inner Loop Header: Depth=2
	s_delay_alu instid0(VALU_DEP_1)
	v_ashrrev_i32_e32 v4, 31, v3
	s_or_b32 s55, s55, exec_lo
	s_or_b32 s53, s53, exec_lo
	s_and_not1_b32 s54, s54, exec_lo
	s_and_not1_b32 s51, s51, exec_lo
	v_lshlrev_b64 v[8:9], 3, v[3:4]
	s_and_not1_b32 s52, s52, exec_lo
	s_or_b32 s50, s50, exec_lo
	s_mov_b32 s56, exec_lo
	s_delay_alu instid0(VALU_DEP_1) | instskip(NEXT) | instid1(VALU_DEP_2)
	v_add_co_u32 v8, vcc_lo, s38, v8
	v_add_co_ci_u32_e32 v9, vcc_lo, s39, v9, vcc_lo
	global_load_b64 v[8:9], v[8:9], off
	s_waitcnt vmcnt(0)
	v_cmpx_o_f64_e32 v[8:9], v[8:9]
	s_cbranch_execz .LBB4_13
; %bb.15:                               ;   in Loop: Header=BB4_14 Depth=2
	s_mov_b32 s57, 0
	s_mov_b32 s60, -1
	s_mov_b32 s59, 0
	s_mov_b32 s61, -1
	s_mov_b32 s62, -1
	s_mov_b32 s58, exec_lo
	v_cmpx_neq_f64_e64 0x7ff00000, |v[8:9]|
	s_cbranch_execz .LBB4_12
; %bb.16:                               ;   in Loop: Header=BB4_14 Depth=2
	s_mov_b32 s59, exec_lo
	v_cmpx_ngt_f64_e32 0, v[8:9]
	s_cbranch_execz .LBB4_11
; %bb.17:                               ;   in Loop: Header=BB4_14 Depth=2
	v_add_f64 v[1:2], v[1:2], v[8:9]
	v_add_nc_u32_e32 v10, s42, v10
	v_add_nc_u32_e32 v3, s45, v3
	s_xor_b32 s61, exec_lo, -1
	s_delay_alu instid0(VALU_DEP_2)
	v_cmp_le_i32_e32 vcc_lo, s24, v10
	s_or_not1_b32 s60, vcc_lo, exec_lo
	s_branch .LBB4_11
.LBB4_18:                               ;   in Loop: Header=BB4_5 Depth=1
	s_or_b32 exec_lo, exec_lo, s44
	s_delay_alu instid0(SALU_CYCLE_1)
	s_and_b32 s49, s49, exec_lo
	s_or_not1_b32 s47, s47, exec_lo
	s_and_b32 s45, s48, exec_lo
	s_and_b32 s44, s46, exec_lo
	s_or_not1_b32 s43, s43, exec_lo
.LBB4_19:                               ;   in Loop: Header=BB4_5 Depth=1
	s_or_b32 exec_lo, exec_lo, s41
	s_delay_alu instid0(SALU_CYCLE_1)
	s_and_b32 s46, s49, exec_lo
	s_or_not1_b32 s41, s47, exec_lo
	s_and_b32 s45, s45, exec_lo
	s_and_b32 s44, s44, exec_lo
	;; [unrolled: 1-line block ×3, first 2 shown]
.LBB4_20:                               ;   in Loop: Header=BB4_5 Depth=1
	s_or_b32 exec_lo, exec_lo, s40
	s_delay_alu instid0(SALU_CYCLE_1)
	s_and_b32 s47, s46, exec_lo
	s_and_b32 s46, s41, exec_lo
	s_or_not1_b32 s40, s45, exec_lo
	s_and_b32 s43, s44, exec_lo
	s_and_b32 s41, s42, exec_lo
.LBB4_21:                               ;   in Loop: Header=BB4_5 Depth=1
	s_or_b32 exec_lo, exec_lo, s7
	s_delay_alu instid0(SALU_CYCLE_1)
	s_and_b32 s45, s47, exec_lo
	s_and_b32 s44, s46, exec_lo
	;; [unrolled: 1-line block ×3, first 2 shown]
	s_or_not1_b32 s7, s43, exec_lo
	s_and_b32 s40, s41, exec_lo
.LBB4_22:                               ;   in Loop: Header=BB4_5 Depth=1
	s_or_b32 exec_lo, exec_lo, s1
	s_delay_alu instid0(SALU_CYCLE_1)
	s_and_b32 s41, s45, exec_lo
	s_and_b32 s39, s44, exec_lo
	;; [unrolled: 1-line block ×4, first 2 shown]
	s_or_not1_b32 s1, s40, exec_lo
.LBB4_23:                               ;   in Loop: Header=BB4_5 Depth=1
	s_or_b32 exec_lo, exec_lo, s0
	s_delay_alu instid0(SALU_CYCLE_1)
	s_and_not1_b32 s35, s35, exec_lo
	s_and_b32 s40, s41, exec_lo
	s_and_not1_b32 s37, s37, exec_lo
	s_and_not1_b32 s34, s34, exec_lo
	s_and_b32 s39, s39, exec_lo
	s_and_not1_b32 s36, s36, exec_lo
	s_and_b32 s38, s38, exec_lo
	;; [unrolled: 2-line block ×3, first 2 shown]
	s_mov_b32 s0, -1
	s_or_b32 s35, s35, s40
	s_or_b32 s37, s37, s40
	;; [unrolled: 1-line block ×5, first 2 shown]
	s_and_saveexec_b32 s38, s1
	s_cbranch_execz .LBB4_4
; %bb.24:                               ;   in Loop: Header=BB4_5 Depth=1
	v_cmp_gt_u32_e32 vcc_lo, 16, v21
	s_waitcnt_vscnt null, 0x0
	s_barrier
	buffer_gl0_inv
	v_cndmask_b32_e64 v3, 0, 1, vcc_lo
	v_cmp_gt_u32_e32 vcc_lo, 24, v21
	s_delay_alu instid0(VALU_DEP_2) | instskip(NEXT) | instid1(VALU_DEP_1)
	v_lshlrev_b32_e32 v3, 4, v3
	v_add_lshl_u32 v10, v3, v21, 2
	ds_bpermute_b32 v3, v10, v1
	ds_bpermute_b32 v4, v10, v2
	s_waitcnt lgkmcnt(0)
	v_add_f64 v[1:2], v[1:2], v[3:4]
	v_cndmask_b32_e64 v3, 0, 1, vcc_lo
	v_cmp_gt_u32_e32 vcc_lo, 28, v21
	s_delay_alu instid0(VALU_DEP_2) | instskip(NEXT) | instid1(VALU_DEP_1)
	v_lshlrev_b32_e32 v3, 3, v3
	v_add_lshl_u32 v11, v3, v21, 2
	ds_bpermute_b32 v3, v11, v1
	ds_bpermute_b32 v4, v11, v2
	s_waitcnt lgkmcnt(0)
	v_add_f64 v[1:2], v[1:2], v[3:4]
	v_cndmask_b32_e64 v3, 0, 1, vcc_lo
	v_cmp_gt_u32_e32 vcc_lo, 30, v21
	s_delay_alu instid0(VALU_DEP_2) | instskip(NEXT) | instid1(VALU_DEP_1)
	v_lshlrev_b32_e32 v3, 2, v3
	v_add_lshl_u32 v12, v3, v21, 2
	ds_bpermute_b32 v3, v12, v1
	ds_bpermute_b32 v4, v12, v2
	s_waitcnt lgkmcnt(0)
	v_add_f64 v[1:2], v[1:2], v[3:4]
	v_cndmask_b32_e64 v3, 0, 1, vcc_lo
	v_cmp_ne_u32_e32 vcc_lo, 31, v21
	s_delay_alu instid0(VALU_DEP_2) | instskip(NEXT) | instid1(VALU_DEP_1)
	v_lshlrev_b32_e32 v3, 1, v3
	v_add_lshl_u32 v13, v3, v21, 2
	ds_bpermute_b32 v3, v13, v1
	ds_bpermute_b32 v4, v13, v2
	s_waitcnt lgkmcnt(0)
	v_add_f64 v[1:2], v[1:2], v[3:4]
	v_add_co_ci_u32_e32 v3, vcc_lo, 0, v21, vcc_lo
	s_delay_alu instid0(VALU_DEP_1)
	v_lshlrev_b32_e32 v14, 2, v3
	ds_bpermute_b32 v3, v14, v1
	ds_bpermute_b32 v4, v14, v2
	s_and_saveexec_b32 s0, s5
	s_cbranch_execz .LBB4_26
; %bb.25:                               ;   in Loop: Header=BB4_5 Depth=1
	s_waitcnt lgkmcnt(0)
	v_add_f64 v[1:2], v[1:2], v[3:4]
	ds_store_b64 v25, v[1:2]
.LBB4_26:                               ;   in Loop: Header=BB4_5 Depth=1
	s_or_b32 exec_lo, exec_lo, s0
	s_waitcnt lgkmcnt(0)
	s_barrier
	buffer_gl0_inv
	s_clause 0x1
	s_load_b32 s0, s[20:21], 0xc
	s_load_b32 s39, s[20:21], 0x0
	v_mov_b32_e32 v1, 0
	v_mov_b32_e32 v2, 0
	s_waitcnt lgkmcnt(0)
	s_bfe_u32 s1, s0, 0xb0005
	s_delay_alu instid0(SALU_CYCLE_1)
	v_cmp_gt_u32_e32 vcc_lo, s1, v0
	s_and_saveexec_b32 s1, vcc_lo
	s_cbranch_execz .LBB4_28
; %bb.27:                               ;   in Loop: Header=BB4_5 Depth=1
	ds_load_b64 v[1:2], v22
.LBB4_28:                               ;   in Loop: Header=BB4_5 Depth=1
	s_or_b32 exec_lo, exec_lo, s1
	s_and_saveexec_b32 s1, s2
	s_cbranch_execz .LBB4_30
; %bb.29:                               ;   in Loop: Header=BB4_5 Depth=1
	s_waitcnt lgkmcnt(0)
	ds_bpermute_b32 v3, v10, v1
	ds_bpermute_b32 v4, v10, v2
	s_waitcnt lgkmcnt(0)
	v_add_f64 v[1:2], v[1:2], v[3:4]
	ds_bpermute_b32 v3, v11, v1
	ds_bpermute_b32 v4, v11, v2
	s_waitcnt lgkmcnt(0)
	v_add_f64 v[1:2], v[1:2], v[3:4]
	;; [unrolled: 4-line block ×5, first 2 shown]
.LBB4_30:                               ;   in Loop: Header=BB4_5 Depth=1
	s_or_b32 exec_lo, exec_lo, s1
	s_mov_b32 s1, -1
	s_mov_b32 s46, -1
                                        ; implicit-def: $sgpr41
                                        ; implicit-def: $sgpr42
                                        ; implicit-def: $sgpr40
                                        ; implicit-def: $sgpr44
                                        ; implicit-def: $sgpr43
	s_and_saveexec_b32 s7, s3
	s_cbranch_execz .LBB4_36
; %bb.31:                               ;   in Loop: Header=BB4_5 Depth=1
	s_mov_b32 s43, -1
	s_mov_b32 s40, 0
	s_mov_b32 s44, 0
	;; [unrolled: 1-line block ×3, first 2 shown]
	s_mov_b32 s41, exec_lo
	v_cmpx_neq_f64_e64 0x7ff00000, |v[8:9]|
	s_cbranch_execz .LBB4_35
; %bb.32:                               ;   in Loop: Header=BB4_5 Depth=1
	s_mov_b32 s42, 0
	s_mov_b32 s43, exec_lo
	s_waitcnt lgkmcnt(0)
	s_delay_alu instid0(VALU_DEP_2)
	v_cmpx_lt_f64_e32 0, v[1:2]
	s_cbranch_execz .LBB4_34
; %bb.33:                               ;   in Loop: Header=BB4_5 Depth=1
	s_lshl_b64 s[44:45], s[22:23], 3
	s_mov_b32 s42, exec_lo
	s_add_u32 s44, s12, s44
	s_addc_u32 s45, s13, s45
	global_load_b64 v[3:4], v5, s[44:45]
	ds_store_b32 v5, v5
	s_waitcnt vmcnt(0)
	ds_store_2addr_b64 v26, v[1:2], v[3:4] offset1:1
.LBB4_34:                               ;   in Loop: Header=BB4_5 Depth=1
	s_or_b32 exec_lo, exec_lo, s43
	s_delay_alu instid0(SALU_CYCLE_1)
	s_mov_b32 s45, exec_lo
	s_xor_b32 s43, exec_lo, -1
	s_and_b32 s44, s42, exec_lo
.LBB4_35:                               ;   in Loop: Header=BB4_5 Depth=1
	s_or_b32 exec_lo, exec_lo, s41
	s_delay_alu instid0(SALU_CYCLE_1)
	s_and_b32 s42, s45, exec_lo
	s_and_b32 s41, s43, exec_lo
	s_or_not1_b32 s46, s44, exec_lo
	s_mov_b32 s44, 0
	s_mov_b32 s43, 0
.LBB4_36:                               ;   in Loop: Header=BB4_5 Depth=1
	s_or_b32 exec_lo, exec_lo, s7
	s_and_saveexec_b32 s45, s46
	s_cbranch_execz .LBB4_3
; %bb.37:                               ;   in Loop: Header=BB4_5 Depth=1
	s_waitcnt lgkmcnt(0)
	s_barrier
	buffer_gl0_inv
	ds_load_2addr_b64 v[1:4], v26 offset1:1
	s_waitcnt lgkmcnt(0)
	s_barrier
	buffer_gl0_inv
	v_cmp_neq_f64_e32 vcc_lo, 0, v[1:2]
	s_cbranch_vccz .LBB4_65
; %bb.38:                               ;   in Loop: Header=BB4_5 Depth=1
	s_and_b32 s46, s0, 0xffff
	ds_store_b8 v5, v5 offset:4
	v_cvt_f32_u32_e32 v10, s46
	s_sub_i32 s1, 0, s46
	s_add_i32 s7, s26, s46
	s_delay_alu instid0(VALU_DEP_1) | instskip(SKIP_2) | instid1(VALU_DEP_1)
	v_rcp_iflag_f32_e32 v10, v10
	s_waitcnt_depctr 0xfff
	v_mul_f32_e32 v10, 0x4f7ffffe, v10
	v_cvt_u32_f32_e32 v10, v10
	s_delay_alu instid0(VALU_DEP_1) | instskip(NEXT) | instid1(VALU_DEP_1)
	v_readfirstlane_b32 s0, v10
	s_mul_i32 s1, s1, s0
	s_delay_alu instid0(SALU_CYCLE_1) | instskip(NEXT) | instid1(SALU_CYCLE_1)
	s_mul_hi_u32 s1, s0, s1
	s_add_i32 s0, s0, s1
	s_delay_alu instid0(SALU_CYCLE_1) | instskip(NEXT) | instid1(SALU_CYCLE_1)
	s_mul_hi_u32 s0, s7, s0
	s_mul_i32 s1, s0, s46
	s_delay_alu instid0(SALU_CYCLE_1)
	s_sub_i32 s1, s7, s1
	s_add_i32 s7, s0, 1
	s_sub_i32 s47, s1, s46
	s_cmp_ge_u32 s1, s46
	s_cselect_b32 s0, s7, s0
	s_cselect_b32 s1, s47, s1
	s_add_i32 s7, s0, 1
	s_cmp_ge_u32 s1, s46
	s_cselect_b32 s47, s7, s0
	s_mov_b32 s0, 0
	s_cmp_lt_i32 s47, 1
	s_cbranch_scc1 .LBB4_58
; %bb.39:                               ;   in Loop: Header=BB4_5 Depth=1
	s_mul_i32 s0, s22, s25
	s_mul_hi_u32 s1, s22, s18
	s_mul_i32 s7, s23, s18
	s_add_i32 s1, s1, s0
	s_mul_i32 s0, s22, s18
	s_add_i32 s1, s1, s7
	v_mov_b32_e32 v10, 0
	s_lshl_b64 s[0:1], s[0:1], 3
	v_mov_b32_e32 v11, 0
	s_add_u32 s48, s14, s0
	s_addc_u32 s49, s15, s1
	s_cmp_gt_u32 s46, 1
	s_mov_b32 s52, 0
	s_cselect_b32 s50, -1, 0
	s_lshl_b32 s0, s46, 3
	v_dual_mov_b32 v13, v11 :: v_dual_mov_b32 v12, v10
	s_add_i32 s51, s0, 8
	s_delay_alu instid0(SALU_CYCLE_1)
	s_add_i32 s51, s51, -8
	s_branch .LBB4_42
.LBB4_40:                               ;   in Loop: Header=BB4_42 Depth=2
	s_or_b32 exec_lo, exec_lo, s7
	ds_store_b8 v5, v27 offset:4
.LBB4_41:                               ;   in Loop: Header=BB4_42 Depth=2
	s_or_b32 exec_lo, exec_lo, s0
	v_mov_b32_e32 v14, s51
	s_add_i32 s52, s52, 1
	s_delay_alu instid0(SALU_CYCLE_1)
	s_cmp_ge_i32 s52, s47
	s_cselect_b32 s1, -1, 0
	ds_load_b64 v[14:15], v14
	s_waitcnt lgkmcnt(0)
	s_barrier
	buffer_gl0_inv
	v_add_f64 v[12:13], v[12:13], v[14:15]
	ds_load_u8 v14, v5 offset:4
	s_waitcnt lgkmcnt(0)
	v_readfirstlane_b32 s0, v14
	s_delay_alu instid0(VALU_DEP_1) | instskip(SKIP_1) | instid1(SALU_CYCLE_1)
	s_bitcmp1_b32 s0, 0
	s_cselect_b32 s0, -1, 0
	s_or_b32 s1, s1, s0
	s_delay_alu instid0(SALU_CYCLE_1)
	s_and_b32 vcc_lo, exec_lo, s1
	s_cbranch_vccnz .LBB4_58
.LBB4_42:                               ;   Parent Loop BB4_5 Depth=1
                                        ; =>  This Loop Header: Depth=2
                                        ;       Child Loop BB4_47 Depth 3
                                        ;       Child Loop BB4_55 Depth 3
	v_mad_u64_u32 v[14:15], null, s52, s46, v[0:1]
	v_dual_mov_b32 v16, v11 :: v_dual_mov_b32 v15, v10
	s_delay_alu instid0(VALU_DEP_2) | instskip(NEXT) | instid1(VALU_DEP_1)
	v_cmp_gt_i32_e64 s0, s24, v14
	s_and_saveexec_b32 s1, s0
	s_cbranch_execz .LBB4_44
; %bb.43:                               ;   in Loop: Header=BB4_42 Depth=2
	v_mul_lo_u32 v15, v14, s19
	s_delay_alu instid0(VALU_DEP_1) | instskip(NEXT) | instid1(VALU_DEP_1)
	v_ashrrev_i32_e32 v16, 31, v15
	v_lshlrev_b64 v[15:16], 3, v[15:16]
	s_delay_alu instid0(VALU_DEP_1) | instskip(NEXT) | instid1(VALU_DEP_2)
	v_add_co_u32 v15, vcc_lo, s48, v15
	v_add_co_ci_u32_e32 v16, vcc_lo, s49, v16, vcc_lo
	global_load_b64 v[15:16], v[15:16], off
	s_waitcnt vmcnt(0)
	v_div_scale_f64 v[17:18], null, v[1:2], v[1:2], v[15:16]
	s_delay_alu instid0(VALU_DEP_1) | instskip(SKIP_2) | instid1(VALU_DEP_1)
	v_rcp_f64_e32 v[19:20], v[17:18]
	s_waitcnt_depctr 0xfff
	v_fma_f64 v[28:29], -v[17:18], v[19:20], 1.0
	v_fma_f64 v[19:20], v[19:20], v[28:29], v[19:20]
	s_delay_alu instid0(VALU_DEP_1) | instskip(NEXT) | instid1(VALU_DEP_1)
	v_fma_f64 v[28:29], -v[17:18], v[19:20], 1.0
	v_fma_f64 v[19:20], v[19:20], v[28:29], v[19:20]
	v_div_scale_f64 v[28:29], vcc_lo, v[15:16], v[1:2], v[15:16]
	s_delay_alu instid0(VALU_DEP_1) | instskip(NEXT) | instid1(VALU_DEP_1)
	v_mul_f64 v[30:31], v[28:29], v[19:20]
	v_fma_f64 v[17:18], -v[17:18], v[30:31], v[28:29]
	s_delay_alu instid0(VALU_DEP_1) | instskip(NEXT) | instid1(VALU_DEP_1)
	v_div_fmas_f64 v[17:18], v[17:18], v[19:20], v[30:31]
	v_div_fixup_f64 v[15:16], v[17:18], v[1:2], v[15:16]
.LBB4_44:                               ;   in Loop: Header=BB4_42 Depth=2
	s_or_b32 exec_lo, exec_lo, s1
	s_delay_alu instid0(SALU_CYCLE_1)
	s_and_not1_b32 vcc_lo, exec_lo, s50
	ds_store_b64 v23, v[15:16]
	s_waitcnt lgkmcnt(0)
	s_barrier
	buffer_gl0_inv
	s_cbranch_vccnz .LBB4_51
; %bb.45:                               ;   in Loop: Header=BB4_42 Depth=2
	s_mov_b32 s1, 1
	s_set_inst_prefetch_distance 0x1
	s_branch .LBB4_47
	.p2align	6
.LBB4_46:                               ;   in Loop: Header=BB4_47 Depth=3
	s_or_b32 exec_lo, exec_lo, s7
	s_lshl_b32 s1, s1, 1
	s_waitcnt lgkmcnt(0)
	s_cmp_ge_u32 s1, s46
	s_barrier
	buffer_gl0_inv
	s_cbranch_scc1 .LBB4_51
.LBB4_47:                               ;   Parent Loop BB4_5 Depth=1
                                        ;     Parent Loop BB4_42 Depth=2
                                        ; =>    This Inner Loop Header: Depth=3
	v_mov_b32_e32 v17, 0
	v_mov_b32_e32 v18, 0
	v_cmp_le_u32_e32 vcc_lo, s1, v0
	s_and_saveexec_b32 s7, vcc_lo
	s_cbranch_execz .LBB4_49
; %bb.48:                               ;   in Loop: Header=BB4_47 Depth=3
	v_subrev_nc_u32_e32 v17, s1, v0
	s_delay_alu instid0(VALU_DEP_1)
	v_lshl_add_u32 v17, v17, 3, 8
	ds_load_b64 v[17:18], v17
	ds_load_b64 v[19:20], v23
	s_waitcnt lgkmcnt(0)
	v_add_f64 v[17:18], v[17:18], v[19:20]
.LBB4_49:                               ;   in Loop: Header=BB4_47 Depth=3
	s_or_b32 exec_lo, exec_lo, s7
	s_barrier
	buffer_gl0_inv
	s_and_saveexec_b32 s7, vcc_lo
	s_cbranch_execz .LBB4_46
; %bb.50:                               ;   in Loop: Header=BB4_47 Depth=3
	ds_store_b64 v23, v[17:18]
	s_branch .LBB4_46
.LBB4_51:                               ;   in Loop: Header=BB4_42 Depth=2
	s_set_inst_prefetch_distance 0x2
	ds_load_b64 v[17:18], v23
	v_dual_mov_b32 v20, v13 :: v_dual_mov_b32 v19, v12
	s_and_saveexec_b32 s1, s4
	s_cbranch_execz .LBB4_53
; %bb.52:                               ;   in Loop: Header=BB4_42 Depth=2
	ds_load_b64 v[19:20], v24
	s_waitcnt lgkmcnt(0)
	v_add_f64 v[19:20], v[12:13], v[19:20]
.LBB4_53:                               ;   in Loop: Header=BB4_42 Depth=2
	s_or_b32 exec_lo, exec_lo, s1
	s_waitcnt lgkmcnt(0)
	v_add_f64 v[17:18], v[12:13], v[17:18]
	s_delay_alu instid0(VALU_DEP_2) | instskip(SKIP_1) | instid1(VALU_DEP_3)
	v_cmp_ge_f64_e64 s1, v[3:4], v[19:20]
	v_cmp_lt_f64_e64 s7, 0, v[15:16]
	v_cmp_nge_f64_e32 vcc_lo, v[3:4], v[17:18]
	s_and_b32 s0, s0, vcc_lo
	s_delay_alu instid0(VALU_DEP_3) | instid1(SALU_CYCLE_1)
	s_and_b32 s0, s0, s1
	s_delay_alu instid0(VALU_DEP_2) | instid1(SALU_CYCLE_1)
	s_and_b32 s1, s0, s7
	s_delay_alu instid0(SALU_CYCLE_1)
	s_and_saveexec_b32 s0, s1
	s_cbranch_execz .LBB4_41
; %bb.54:                               ;   in Loop: Header=BB4_42 Depth=2
	s_mov_b32 s7, exec_lo
	s_mov_b32 s1, 0
.LBB4_55:                               ;   Parent Loop BB4_5 Depth=1
                                        ;     Parent Loop BB4_42 Depth=2
                                        ; =>    This Inner Loop Header: Depth=3
	s_ctz_i32_b32 s53, s7
	s_delay_alu instid0(SALU_CYCLE_1) | instskip(SKIP_1) | instid1(SALU_CYCLE_1)
	v_readlane_b32 s54, v14, s53
	s_lshl_b32 s53, 1, s53
	s_and_not1_b32 s7, s7, s53
	s_delay_alu instid0(VALU_DEP_1)
	s_max_u32 s1, s1, s54
	s_cmp_lg_u32 s7, 0
	s_cbranch_scc1 .LBB4_55
; %bb.56:                               ;   in Loop: Header=BB4_42 Depth=2
	v_mbcnt_lo_u32_b32 v14, exec_lo, 0
	s_mov_b32 s7, exec_lo
	s_delay_alu instid0(VALU_DEP_1)
	v_cmpx_eq_u32_e32 0, v14
	s_xor_b32 s7, exec_lo, s7
	s_cbranch_execz .LBB4_40
; %bb.57:                               ;   in Loop: Header=BB4_42 Depth=2
	v_mov_b32_e32 v14, s1
	ds_max_u32 v5, v14
	s_branch .LBB4_40
.LBB4_58:                               ;   in Loop: Header=BB4_5 Depth=1
	s_xor_b32 s1, s0, -1
	s_mov_b32 s7, 0
	s_mov_b32 s0, 0
	s_and_saveexec_b32 s46, s3
	s_cbranch_execz .LBB4_69
; %bb.59:                               ;   in Loop: Header=BB4_5 Depth=1
	s_and_b32 vcc_lo, exec_lo, s1
	s_cbranch_vccz .LBB4_66
; %bb.60:                               ;   in Loop: Header=BB4_5 Depth=1
	s_mul_i32 s0, s22, s25
	s_mul_hi_u32 s1, s22, s18
	s_mul_i32 s47, s23, s18
	s_add_i32 s1, s1, s0
	s_mul_i32 s0, s22, s18
	s_add_i32 s1, s1, s47
	s_mov_b32 s47, s24
	s_lshl_b64 s[48:49], s[0:1], 3
	s_mov_b32 s0, s27
	s_add_u32 s48, s14, s48
	s_addc_u32 s49, s15, s49
	s_branch .LBB4_62
	.p2align	6
.LBB4_61:                               ;   in Loop: Header=BB4_62 Depth=2
	s_ashr_i32 s1, s0, 31
	s_add_i32 s47, s47, -1
	s_lshl_b64 s[50:51], s[0:1], 3
	s_mov_b32 s1, 0
	s_add_u32 s50, s48, s50
	s_addc_u32 s51, s49, s51
	s_sub_i32 s0, s0, s19
	global_load_b64 v[1:2], v5, s[50:51]
	s_waitcnt vmcnt(0)
	v_cmp_lt_f64_e64 s50, 0, v[1:2]
	s_delay_alu instid0(VALU_DEP_1)
	s_and_not1_b32 vcc_lo, exec_lo, s50
	s_cbranch_vccz .LBB4_64
.LBB4_62:                               ;   Parent Loop BB4_5 Depth=1
                                        ; =>  This Inner Loop Header: Depth=2
	s_cmp_lt_i32 s47, 1
	s_cbranch_scc0 .LBB4_61
; %bb.63:                               ;   in Loop: Header=BB4_5 Depth=1
	s_mov_b32 s1, -1
                                        ; implicit-def: $sgpr0
                                        ; implicit-def: $sgpr47
.LBB4_64:                               ;   in Loop: Header=BB4_5 Depth=1
	s_delay_alu instid0(SALU_CYCLE_1)
	s_xor_b32 s0, s1, -1
	v_mov_b32_e32 v4, s47
	s_branch .LBB4_68
.LBB4_65:                               ;   in Loop: Header=BB4_5 Depth=1
	s_mov_b32 s0, 0
	s_cbranch_execnz .LBB4_70
	s_branch .LBB4_71
.LBB4_66:                               ;   in Loop: Header=BB4_5 Depth=1
                                        ; implicit-def: $sgpr47
	v_mov_b32_e32 v4, s47
	s_cbranch_execz .LBB4_68
; %bb.67:                               ;   in Loop: Header=BB4_5 Depth=1
	ds_load_b32 v4, v5
	s_mov_b32 s0, -1
.LBB4_68:                               ;   in Loop: Header=BB4_5 Depth=1
	s_delay_alu instid0(SALU_CYCLE_1)
	s_and_b32 s0, s0, exec_lo
.LBB4_69:                               ;   in Loop: Header=BB4_5 Depth=1
	s_or_b32 exec_lo, exec_lo, s46
	s_delay_alu instid0(SALU_CYCLE_1)
	s_and_b32 vcc_lo, exec_lo, s7
	s_cbranch_vccz .LBB4_71
.LBB4_70:                               ;   in Loop: Header=BB4_5 Depth=1
	s_waitcnt lgkmcnt(0)
	v_mov_b32_e32 v4, 0
	s_and_not1_b32 s0, s0, exec_lo
	s_and_b32 s1, s3, exec_lo
	s_delay_alu instid0(SALU_CYCLE_1)
	s_or_b32 s0, s0, s1
.LBB4_71:                               ;   in Loop: Header=BB4_5 Depth=1
	s_delay_alu instid0(SALU_CYCLE_1)
	s_and_saveexec_b32 s1, s0
	s_cbranch_execz .LBB4_2
; %bb.72:                               ;   in Loop: Header=BB4_5 Depth=1
	s_lshl_b64 s[46:47], s[22:23], 3
	s_delay_alu instid0(SALU_CYCLE_1)
	s_add_u32 s46, s8, s46
	s_addc_u32 s47, s9, s47
	s_waitcnt lgkmcnt(0)
	global_store_b64 v5, v[4:5], s[46:47]
	s_branch .LBB4_2
.LBB4_73:
	s_or_b32 exec_lo, exec_lo, s17
	s_xor_b32 s3, s31, -1
	s_xor_b32 s5, s29, -1
	;; [unrolled: 1-line block ×4, first 2 shown]
	s_mov_b32 s1, 0
	s_and_saveexec_b32 s2, s0
	s_delay_alu instid0(SALU_CYCLE_1)
	s_xor_b32 s0, exec_lo, s2
	s_cbranch_execz .LBB4_85
; %bb.74:
	s_mov_b32 s2, 0
	s_and_saveexec_b32 s1, s4
	s_delay_alu instid0(SALU_CYCLE_1)
	s_xor_b32 s1, exec_lo, s1
	s_cbranch_execz .LBB4_83
; %bb.75:
	;; [unrolled: 6-line block ×3, first 2 shown]
	s_and_saveexec_b32 s5, s3
	s_delay_alu instid0(SALU_CYCLE_1)
	s_xor_b32 s3, exec_lo, s5
	s_cbranch_execz .LBB4_79
; %bb.77:
	s_and_saveexec_b32 s5, s16
	s_delay_alu instid0(SALU_CYCLE_1)
	s_xor_b32 s5, exec_lo, s5
	s_cbranch_execnz .LBB4_103
.LBB4_78:
	s_or_b32 exec_lo, exec_lo, s5
	s_delay_alu instid0(SALU_CYCLE_1)
	s_and_b32 s4, s4, exec_lo
.LBB4_79:
	s_and_not1_saveexec_b32 s3, s3
	s_cbranch_execnz .LBB4_99
.LBB4_80:
	s_or_b32 exec_lo, exec_lo, s3
	s_delay_alu instid0(SALU_CYCLE_1)
	s_and_b32 s4, s4, exec_lo
.LBB4_81:
	s_and_not1_saveexec_b32 s2, s2
	s_cbranch_execnz .LBB4_95
.LBB4_82:
	s_or_b32 exec_lo, exec_lo, s2
	s_delay_alu instid0(SALU_CYCLE_1)
	s_and_b32 s2, s4, exec_lo
.LBB4_83:
	s_and_not1_saveexec_b32 s1, s1
	s_cbranch_execnz .LBB4_91
.LBB4_84:
	s_or_b32 exec_lo, exec_lo, s1
	s_delay_alu instid0(SALU_CYCLE_1)
	s_and_b32 s1, s2, exec_lo
.LBB4_85:
	s_and_not1_saveexec_b32 s0, s0
	s_cbranch_execnz .LBB4_89
; %bb.86:
	s_or_b32 exec_lo, exec_lo, s0
	s_and_saveexec_b32 s0, s1
.LBB4_87:
	; divergent unreachable
.LBB4_88:
	s_nop 0
	s_sendmsg sendmsg(MSG_DEALLOC_VGPRS)
	s_endpgm
.LBB4_89:
	s_cbranch_execnz .LBB4_93
; %bb.90:
	s_or_b32 s1, s1, exec_lo
	s_or_b32 exec_lo, exec_lo, s0
	s_and_saveexec_b32 s0, s1
	s_cbranch_execnz .LBB4_87
	s_branch .LBB4_88
.LBB4_91:
	s_cbranch_execnz .LBB4_97
; %bb.92:
	s_or_b32 s2, s2, exec_lo
	s_branch .LBB4_84
.LBB4_93:
	s_trap 2
	s_sendmsg_rtn_b32 s0, sendmsg(MSG_RTN_GET_DOORBELL)
	s_mov_b32 ttmp2, m0
	s_waitcnt lgkmcnt(0)
	s_and_b32 s0, s0, 0x3ff
	s_delay_alu instid0(SALU_CYCLE_1) | instskip(NEXT) | instid1(SALU_CYCLE_1)
	s_bitset1_b32 s0, 10
	s_mov_b32 m0, s0
	s_sendmsg sendmsg(MSG_INTERRUPT)
	s_mov_b32 m0, ttmp2
.LBB4_94:                               ; =>This Inner Loop Header: Depth=1
	s_sethalt 5
	s_branch .LBB4_94
.LBB4_95:
	s_cbranch_execnz .LBB4_101
; %bb.96:
	s_or_b32 s4, s4, exec_lo
	s_branch .LBB4_82
.LBB4_97:
	s_trap 2
	s_sendmsg_rtn_b32 s0, sendmsg(MSG_RTN_GET_DOORBELL)
	s_mov_b32 ttmp2, m0
	s_waitcnt lgkmcnt(0)
	s_and_b32 s0, s0, 0x3ff
	s_delay_alu instid0(SALU_CYCLE_1) | instskip(NEXT) | instid1(SALU_CYCLE_1)
	s_bitset1_b32 s0, 10
	s_mov_b32 m0, s0
	s_sendmsg sendmsg(MSG_INTERRUPT)
	s_mov_b32 m0, ttmp2
.LBB4_98:                               ; =>This Inner Loop Header: Depth=1
	s_sethalt 5
	s_branch .LBB4_98
.LBB4_99:
	s_cbranch_execnz .LBB4_105
; %bb.100:
	s_or_b32 s4, s4, exec_lo
	s_branch .LBB4_80
.LBB4_101:
	s_trap 2
	s_sendmsg_rtn_b32 s0, sendmsg(MSG_RTN_GET_DOORBELL)
	s_mov_b32 ttmp2, m0
	s_waitcnt lgkmcnt(0)
	s_and_b32 s0, s0, 0x3ff
	s_delay_alu instid0(SALU_CYCLE_1) | instskip(NEXT) | instid1(SALU_CYCLE_1)
	s_bitset1_b32 s0, 10
	s_mov_b32 m0, s0
	s_sendmsg sendmsg(MSG_INTERRUPT)
	s_mov_b32 m0, ttmp2
.LBB4_102:                              ; =>This Inner Loop Header: Depth=1
	s_sethalt 5
	s_branch .LBB4_102
.LBB4_103:
	s_cbranch_execnz .LBB4_107
; %bb.104:
	s_mov_b32 s4, exec_lo
	s_branch .LBB4_78
.LBB4_105:
	s_trap 2
	s_sendmsg_rtn_b32 s0, sendmsg(MSG_RTN_GET_DOORBELL)
	s_mov_b32 ttmp2, m0
	s_waitcnt lgkmcnt(0)
	s_and_b32 s0, s0, 0x3ff
	s_delay_alu instid0(SALU_CYCLE_1) | instskip(NEXT) | instid1(SALU_CYCLE_1)
	s_bitset1_b32 s0, 10
	s_mov_b32 m0, s0
	s_sendmsg sendmsg(MSG_INTERRUPT)
	s_mov_b32 m0, ttmp2
.LBB4_106:                              ; =>This Inner Loop Header: Depth=1
	s_sethalt 5
	s_branch .LBB4_106
.LBB4_107:
	s_trap 2
	s_sendmsg_rtn_b32 s0, sendmsg(MSG_RTN_GET_DOORBELL)
	s_mov_b32 ttmp2, m0
	s_waitcnt lgkmcnt(0)
	s_and_b32 s0, s0, 0x3ff
	s_delay_alu instid0(SALU_CYCLE_1) | instskip(NEXT) | instid1(SALU_CYCLE_1)
	s_bitset1_b32 s0, 10
	s_mov_b32 m0, s0
	s_sendmsg sendmsg(MSG_INTERRUPT)
	s_mov_b32 m0, ttmp2
.LBB4_108:                              ; =>This Inner Loop Header: Depth=1
	s_sethalt 5
	s_branch .LBB4_108
	.section	.rodata,"a",@progbits
	.p2align	6, 0x0
	.amdhsa_kernel _ZN2at6native12_GLOBAL__N_121sampleMultinomialOnceIddEEvPlliPKT_S6_ii
		.amdhsa_group_segment_fixed_size 8
		.amdhsa_private_segment_fixed_size 0
		.amdhsa_kernarg_size 304
		.amdhsa_user_sgpr_count 15
		.amdhsa_user_sgpr_dispatch_ptr 0
		.amdhsa_user_sgpr_queue_ptr 0
		.amdhsa_user_sgpr_kernarg_segment_ptr 1
		.amdhsa_user_sgpr_dispatch_id 0
		.amdhsa_user_sgpr_private_segment_size 0
		.amdhsa_wavefront_size32 1
		.amdhsa_uses_dynamic_stack 0
		.amdhsa_enable_private_segment 0
		.amdhsa_system_sgpr_workgroup_id_x 1
		.amdhsa_system_sgpr_workgroup_id_y 0
		.amdhsa_system_sgpr_workgroup_id_z 0
		.amdhsa_system_sgpr_workgroup_info 0
		.amdhsa_system_vgpr_workitem_id 0
		.amdhsa_next_free_vgpr 32
		.amdhsa_next_free_sgpr 63
		.amdhsa_reserve_vcc 1
		.amdhsa_float_round_mode_32 0
		.amdhsa_float_round_mode_16_64 0
		.amdhsa_float_denorm_mode_32 3
		.amdhsa_float_denorm_mode_16_64 3
		.amdhsa_dx10_clamp 1
		.amdhsa_ieee_mode 1
		.amdhsa_fp16_overflow 0
		.amdhsa_workgroup_processor_mode 1
		.amdhsa_memory_ordered 1
		.amdhsa_forward_progress 0
		.amdhsa_shared_vgpr_count 0
		.amdhsa_exception_fp_ieee_invalid_op 0
		.amdhsa_exception_fp_denorm_src 0
		.amdhsa_exception_fp_ieee_div_zero 0
		.amdhsa_exception_fp_ieee_overflow 0
		.amdhsa_exception_fp_ieee_underflow 0
		.amdhsa_exception_fp_ieee_inexact 0
		.amdhsa_exception_int_div_zero 0
	.end_amdhsa_kernel
	.section	.text._ZN2at6native12_GLOBAL__N_121sampleMultinomialOnceIddEEvPlliPKT_S6_ii,"axG",@progbits,_ZN2at6native12_GLOBAL__N_121sampleMultinomialOnceIddEEvPlliPKT_S6_ii,comdat
.Lfunc_end4:
	.size	_ZN2at6native12_GLOBAL__N_121sampleMultinomialOnceIddEEvPlliPKT_S6_ii, .Lfunc_end4-_ZN2at6native12_GLOBAL__N_121sampleMultinomialOnceIddEEvPlliPKT_S6_ii
                                        ; -- End function
	.section	.AMDGPU.csdata,"",@progbits
; Kernel info:
; codeLenInByte = 3808
; NumSgprs: 65
; NumVgprs: 32
; ScratchSize: 0
; MemoryBound: 0
; FloatMode: 240
; IeeeMode: 1
; LDSByteSize: 8 bytes/workgroup (compile time only)
; SGPRBlocks: 8
; VGPRBlocks: 3
; NumSGPRsForWavesPerEU: 65
; NumVGPRsForWavesPerEU: 32
; Occupancy: 16
; WaveLimiterHint : 0
; COMPUTE_PGM_RSRC2:SCRATCH_EN: 0
; COMPUTE_PGM_RSRC2:USER_SGPR: 15
; COMPUTE_PGM_RSRC2:TRAP_HANDLER: 0
; COMPUTE_PGM_RSRC2:TGID_X_EN: 1
; COMPUTE_PGM_RSRC2:TGID_Y_EN: 0
; COMPUTE_PGM_RSRC2:TGID_Z_EN: 0
; COMPUTE_PGM_RSRC2:TIDIG_COMP_CNT: 0
	.section	.text._ZN2at6native12_GLOBAL__N_132sampleMultinomialWithReplacementIdEEvNS_15PhiloxCudaStateEiPlliPKT_S7_,"axG",@progbits,_ZN2at6native12_GLOBAL__N_132sampleMultinomialWithReplacementIdEEvNS_15PhiloxCudaStateEiPlliPKT_S7_,comdat
	.globl	_ZN2at6native12_GLOBAL__N_132sampleMultinomialWithReplacementIdEEvNS_15PhiloxCudaStateEiPlliPKT_S7_ ; -- Begin function _ZN2at6native12_GLOBAL__N_132sampleMultinomialWithReplacementIdEEvNS_15PhiloxCudaStateEiPlliPKT_S7_
	.p2align	8
	.type	_ZN2at6native12_GLOBAL__N_132sampleMultinomialWithReplacementIdEEvNS_15PhiloxCudaStateEiPlliPKT_S7_,@function
_ZN2at6native12_GLOBAL__N_132sampleMultinomialWithReplacementIdEEvNS_15PhiloxCudaStateEiPlliPKT_S7_: ; @_ZN2at6native12_GLOBAL__N_132sampleMultinomialWithReplacementIdEEvNS_15PhiloxCudaStateEiPlliPKT_S7_
; %bb.0:
	s_clause 0x1
	s_load_b128 s[4:7], s[0:1], 0x0
	s_load_b32 s3, s[0:1], 0x18
	s_mov_b32 s2, s15
	s_waitcnt lgkmcnt(0)
	v_dual_mov_b32 v12, s7 :: v_dual_mov_b32 v11, s6
	v_dual_mov_b32 v1, s4 :: v_dual_mov_b32 v2, s5
	s_bitcmp0_b32 s3, 0
	s_mov_b32 s3, 0
	s_cbranch_scc1 .LBB5_2
; %bb.1:
	v_dual_mov_b32 v1, s6 :: v_dual_mov_b32 v2, s7
	flat_load_b64 v[3:4], v[1:2]
	v_dual_mov_b32 v1, s4 :: v_dual_mov_b32 v2, s5
	s_load_b64 s[4:5], s[0:1], 0x10
	flat_load_b64 v[1:2], v[1:2]
	s_waitcnt vmcnt(1) lgkmcnt(0)
	v_add_co_u32 v11, vcc_lo, v3, s4
	v_add_co_ci_u32_e32 v12, vcc_lo, s5, v4, vcc_lo
.LBB5_2:
	s_load_b128 s[4:7], s[0:1], 0x28
	s_waitcnt lgkmcnt(0)
	v_cmp_ge_i64_e64 s8, s[2:3], s[6:7]
	s_delay_alu instid0(VALU_DEP_1)
	s_and_b32 vcc_lo, exec_lo, s8
	s_cbranch_vccnz .LBB5_36
; %bb.3:
	s_clause 0x2
	s_load_b32 s12, s[0:1], 0x38
	s_load_b32 s23, s[0:1], 0x50
	;; [unrolled: 1-line block ×3, first 2 shown]
	v_alignbit_b32 v14, v12, v11, 2
	v_lshrrev_b32_e32 v18, 2, v12
	s_waitcnt vmcnt(0)
	v_mov_b32_e32 v31, v2
	v_add_co_u32 v15, null, 0x9e3779b9, v1
	v_mad_u64_u32 v[5:6], null, 0xd2511f53, v14, 0
	s_delay_alu instid0(VALU_DEP_3)
	v_add_co_u32 v16, null, 0xbb67ae85, v31
	v_add_co_u32 v19, null, 0x76cf5d0a, v31
	;; [unrolled: 1-line block ×5, first 2 shown]
	s_waitcnt lgkmcnt(0)
	s_ashr_i32 s13, s12, 31
	s_mul_i32 s18, s23, s2
	s_add_u32 s16, s0, 0x50
	s_addc_u32 s17, s1, 0
	s_add_i32 s18, s18, s14
	s_and_b32 s15, s15, 0xffff
	v_add_co_u32 v23, null, 0xed9eba14, v31
	v_mad_u64_u32 v[3:4], null, s18, s15, v[0:1]
	v_xor_b32_e32 v4, v6, v2
	v_add_co_u32 v24, null, 0x78dde6e4, v1
	v_add_co_u32 v25, null, 0x1715609d, v1
	;; [unrolled: 1-line block ×3, first 2 shown]
	v_mad_u64_u32 v[6:7], null, 0xcd9e8d57, v3, 0
	v_ashrrev_i32_e32 v17, 31, v3
	v_add_co_u32 v27, null, 0x646e171e, v31
	v_add_co_u32 v28, null, 0xb54cda56, v1
	s_delay_alu instid0(VALU_DEP_3) | instskip(SKIP_3) | instid1(VALU_DEP_4)
	v_xor_b32_e32 v4, v4, v17
	v_xor3_b32 v12, v1, v7, v18
	v_add_co_u32 v29, null, 0x5384540f, v1
	v_add_co_u32 v30, null, 0x1fd5c5a3, v31
	v_mad_u64_u32 v[7:8], null, 0xcd9e8d57, v4, 0
	s_delay_alu instid0(VALU_DEP_4) | instskip(SKIP_4) | instid1(VALU_DEP_3)
	v_mad_u64_u32 v[9:10], null, 0xd2511f53, v12, 0
	s_clause 0x1
	s_load_b128 s[8:11], s[0:1], 0x40
	s_load_b32 s18, s[0:1], 0x20
	v_add_co_u32 v31, null, 0xdb3d7428, v31
	v_xor3_b32 v6, v15, v8, v6
	v_add_co_u32 v32, null, 0xf1bbcdc8, v1
	s_delay_alu instid0(VALU_DEP_4) | instskip(SKIP_1) | instid1(VALU_DEP_4)
	v_xor3_b32 v8, v16, v10, v5
	v_add_nc_u32_e32 v33, 0x96a522ad, v2
	v_mad_u64_u32 v[4:5], null, 0xd2511f53, v6, 0
	v_cmp_gt_i64_e64 s20, s[12:13], 0
	s_delay_alu instid0(VALU_DEP_4) | instskip(SKIP_3) | instid1(VALU_DEP_4)
	v_mad_u64_u32 v[12:13], null, 0xcd9e8d57, v8, 0
	v_and_b32_e32 v34, 3, v11
	s_mov_b32 s19, 0
	s_add_i32 s21, s12, -1
	v_xor3_b32 v8, v19, v5, v9
	s_mul_i32 s23, s23, s15
                                        ; implicit-def: $sgpr24
                                        ; implicit-def: $sgpr25
	s_delay_alu instid0(VALU_DEP_3) | instskip(SKIP_3) | instid1(VALU_DEP_2)
	v_xor3_b32 v9, v20, v13, v7
	s_waitcnt lgkmcnt(0)
	s_ashr_i32 s22, s18, 31
	v_mad_u64_u32 v[5:6], null, 0xcd9e8d57, v8, 0
	v_mad_u64_u32 v[7:8], null, 0xd2511f53, v9, 0
	s_delay_alu instid0(VALU_DEP_2) | instskip(NEXT) | instid1(VALU_DEP_2)
	v_xor3_b32 v6, v21, v6, v12
	v_xor3_b32 v4, v22, v8, v4
	s_delay_alu instid0(VALU_DEP_2) | instskip(NEXT) | instid1(VALU_DEP_2)
	v_mad_u64_u32 v[8:9], null, 0xd2511f53, v6, 0
	v_mad_u64_u32 v[12:13], null, 0xcd9e8d57, v4, 0
	s_delay_alu instid0(VALU_DEP_2) | instskip(NEXT) | instid1(VALU_DEP_2)
	v_xor3_b32 v6, v23, v9, v7
	v_xor3_b32 v9, v24, v13, v5
	s_delay_alu instid0(VALU_DEP_2) | instskip(NEXT) | instid1(VALU_DEP_2)
	;; [unrolled: 6-line block ×5, first 2 shown]
	v_mad_u64_u32 v[35:36], null, 0xd2511f53, v5, 0
	v_mad_u64_u32 v[37:38], null, 0xcd9e8d57, v6, 0
	s_delay_alu instid0(VALU_DEP_2) | instskip(NEXT) | instid1(VALU_DEP_2)
	v_xor3_b32 v6, v31, v36, v12
	v_xor3_b32 v12, v32, v38, v4
	v_mad_u64_u32 v[4:5], null, s14, s15, v[0:1]
	s_delay_alu instid0(VALU_DEP_3) | instskip(NEXT) | instid1(VALU_DEP_3)
	v_mad_u64_u32 v[9:10], null, 0xcd9e8d57, v6, 0
	v_mad_u64_u32 v[7:8], null, 0xd2511f53, v12, 0
	v_add_nc_u32_e32 v0, 0x8ff34781, v1
	v_mov_b32_e32 v6, 0
	v_cmp_gt_i32_e64 s0, s18, v4
	s_lshl_b64 s[14:15], s[12:13], 3
	s_delay_alu instid0(VALU_DEP_3)
	v_xor3_b32 v10, v10, v37, v0
	v_xor3_b32 v8, v8, v35, v33
	s_branch .LBB5_5
.LBB5_4:                                ;   in Loop: Header=BB5_5 Depth=1
	s_or_b32 exec_lo, exec_lo, s27
	s_delay_alu instid0(SALU_CYCLE_1) | instskip(NEXT) | instid1(SALU_CYCLE_1)
	s_and_b32 s1, exec_lo, s26
	s_or_b32 s19, s1, s19
	s_and_not1_b32 s1, s24, exec_lo
	s_and_b32 s24, s25, exec_lo
	s_delay_alu instid0(SALU_CYCLE_1)
	s_or_b32 s24, s1, s24
	s_and_not1_b32 exec_lo, exec_lo, s19
	s_cbranch_execz .LBB5_35
.LBB5_5:                                ; =>This Loop Header: Depth=1
                                        ;     Child Loop BB5_9 Depth 2
                                        ;       Child Loop BB5_22 Depth 3
                                        ;       Child Loop BB5_28 Depth 3
	s_mov_b32 s1, -1
                                        ; implicit-def: $sgpr27
	s_and_saveexec_b32 s26, s0
	s_cbranch_execz .LBB5_33
; %bb.6:                                ;   in Loop: Header=BB5_5 Depth=1
	s_mul_i32 s1, s2, s13
	s_mul_hi_u32 s27, s2, s12
	s_mul_i32 s28, s2, s12
	s_add_i32 s1, s27, s1
	s_mul_i32 s27, s3, s12
	s_mul_hi_u32 s31, s2, s18
	s_add_i32 s29, s1, s27
	s_mul_i32 s1, s2, s22
	s_lshl_b64 s[28:29], s[28:29], 3
	s_mul_i32 s34, s2, s18
	s_add_u32 s27, s8, s28
	s_addc_u32 s28, s9, s29
	s_add_u32 s29, s27, s14
	s_addc_u32 s30, s28, s15
	s_add_i32 s1, s31, s1
	s_mul_i32 s31, s3, s18
	v_mov_b32_e32 v11, v4
	s_add_i32 s35, s1, s31
	s_mul_i32 s1, s14, s3
	s_lshl_b64 s[34:35], s[34:35], 3
                                        ; implicit-def: $sgpr37
                                        ; implicit-def: $sgpr38
	s_delay_alu instid0(SALU_CYCLE_1)
	s_add_u32 s31, s4, s34
	s_mul_hi_u32 s34, s14, s2
	s_addc_u32 s33, s5, s35
	s_add_i32 s1, s34, s1
	s_mul_i32 s34, s15, s2
	s_mov_b32 s35, 0
	s_add_i32 s1, s1, s34
	s_mul_i32 s34, s14, s2
	s_delay_alu instid0(SALU_CYCLE_1)
	s_add_u32 s34, s10, s34
	s_addc_u32 s36, s11, s1
	s_branch .LBB5_9
.LBB5_7:                                ;   in Loop: Header=BB5_9 Depth=2
	s_mov_b32 s1, -1
	s_mov_b32 s39, -1
                                        ; implicit-def: $vgpr11
                                        ; implicit-def: $vgpr10
                                        ; implicit-def: $vgpr9
                                        ; implicit-def: $vgpr8
                                        ; implicit-def: $vgpr7
                                        ; implicit-def: $vgpr14
                                        ; implicit-def: $vgpr18
                                        ; implicit-def: $vgpr3
                                        ; implicit-def: $vgpr17
.LBB5_8:                                ;   in Loop: Header=BB5_9 Depth=2
	s_delay_alu instid0(SALU_CYCLE_1) | instskip(SKIP_1) | instid1(SALU_CYCLE_1)
	s_xor_b32 s39, s39, -1
	s_and_b32 s40, exec_lo, s1
	s_or_b32 s35, s40, s35
	s_and_not1_b32 s38, s38, exec_lo
	s_and_b32 s1, s1, exec_lo
	s_and_not1_b32 s37, s37, exec_lo
	s_and_b32 s39, s39, exec_lo
	s_or_b32 s38, s38, s1
	s_or_b32 s37, s37, s39
	s_and_not1_b32 exec_lo, exec_lo, s35
	s_cbranch_execz .LBB5_32
.LBB5_9:                                ;   Parent Loop BB5_5 Depth=1
                                        ; =>  This Loop Header: Depth=2
                                        ;       Child Loop BB5_22 Depth 3
                                        ;       Child Loop BB5_28 Depth 3
	v_add_co_u32 v14, vcc_lo, v14, 1
	s_delay_alu instid0(VALU_DEP_1) | instskip(SKIP_2) | instid1(VALU_DEP_1)
	v_cndmask_b32_e64 v5, 0, 1, vcc_lo
	v_add_co_ci_u32_e32 v18, vcc_lo, 0, v18, vcc_lo
	s_mov_b32 s39, exec_lo
	v_cmp_eq_u32_e32 vcc_lo, 0, v18
	s_delay_alu instid0(VALU_DEP_3) | instskip(NEXT) | instid1(VALU_DEP_1)
	v_cndmask_b32_e32 v12, 0, v5, vcc_lo
	v_add_nc_u32_e32 v3, v12, v3
	s_delay_alu instid0(VALU_DEP_1)
	v_cmp_eq_u32_e64 s1, 0, v3
	v_cmpx_lt_i32_e32 1, v34
	s_xor_b32 s39, exec_lo, s39
	s_cbranch_execz .LBB5_15
; %bb.10:                               ;   in Loop: Header=BB5_9 Depth=2
	s_mov_b32 s40, exec_lo
	v_cmpx_lt_i32_e32 2, v34
	s_xor_b32 s40, exec_lo, s40
; %bb.11:                               ;   in Loop: Header=BB5_9 Depth=2
                                        ; implicit-def: $vgpr8
; %bb.12:                               ;   in Loop: Header=BB5_9 Depth=2
	s_delay_alu instid0(SALU_CYCLE_1)
	s_and_not1_saveexec_b32 s40, s40
; %bb.13:                               ;   in Loop: Header=BB5_9 Depth=2
	v_mov_b32_e32 v7, v8
; %bb.14:                               ;   in Loop: Header=BB5_9 Depth=2
	s_or_b32 exec_lo, exec_lo, s40
                                        ; implicit-def: $vgpr10
                                        ; implicit-def: $vgpr9
.LBB5_15:                               ;   in Loop: Header=BB5_9 Depth=2
	s_and_not1_saveexec_b32 s39, s39
	s_cbranch_execz .LBB5_19
; %bb.16:                               ;   in Loop: Header=BB5_9 Depth=2
	s_mov_b32 s40, exec_lo
	v_cmpx_eq_u32_e32 1, v34
; %bb.17:                               ;   in Loop: Header=BB5_9 Depth=2
	v_mov_b32_e32 v10, v9
; %bb.18:                               ;   in Loop: Header=BB5_9 Depth=2
	s_or_b32 exec_lo, exec_lo, s40
	s_delay_alu instid0(VALU_DEP_1)
	v_mov_b32_e32 v7, v10
.LBB5_19:                               ;   in Loop: Header=BB5_9 Depth=2
	s_or_b32 exec_lo, exec_lo, s39
	s_add_u32 s40, s29, -8
	s_addc_u32 s41, s30, -1
	s_load_b64 s[40:41], s[40:41], 0x0
	s_waitcnt lgkmcnt(0)
	v_cmp_ngt_f64_e64 s39, s[40:41], 0
	s_delay_alu instid0(VALU_DEP_1)
	s_and_b32 vcc_lo, exec_lo, s39
	s_cbranch_vccnz .LBB5_7
; %bb.20:                               ;   in Loop: Header=BB5_9 Depth=2
	s_and_not1_b32 vcc_lo, exec_lo, s20
	s_cbranch_vccnz .LBB5_24
; %bb.21:                               ;   in Loop: Header=BB5_9 Depth=2
	v_cvt_f32_u32_e32 v5, v7
	v_mov_b32_e32 v13, 0
	v_mov_b32_e32 v9, s12
	s_mov_b32 s39, 0
	s_delay_alu instid0(VALU_DEP_3) | instskip(NEXT) | instid1(VALU_DEP_1)
	v_fmaak_f32 v5, 0x2f800000, v5, 0x2f800000
	v_cvt_f64_f32_e32 v[7:8], v5
	v_mov_b32_e32 v5, s12
	.p2align	6
.LBB5_22:                               ;   Parent Loop BB5_5 Depth=1
                                        ;     Parent Loop BB5_9 Depth=2
                                        ; =>    This Inner Loop Header: Depth=3
	s_delay_alu instid0(VALU_DEP_1) | instskip(NEXT) | instid1(VALU_DEP_1)
	v_lshrrev_b32_e32 v5, 1, v5
	v_add_nc_u32_e32 v5, v5, v13
	s_delay_alu instid0(VALU_DEP_1) | instskip(SKIP_1) | instid1(VALU_DEP_2)
	v_lshlrev_b64 v[35:36], 3, v[5:6]
	v_add_nc_u32_e32 v10, 1, v5
	v_add_co_u32 v35, vcc_lo, s27, v35
	s_delay_alu instid0(VALU_DEP_3)
	v_add_co_ci_u32_e32 v36, vcc_lo, s28, v36, vcc_lo
	global_load_b64 v[35:36], v[35:36], off
	s_waitcnt vmcnt(0)
	v_cmp_lt_f64_e32 vcc_lo, v[35:36], v[7:8]
	v_cndmask_b32_e32 v9, v5, v9, vcc_lo
	v_cndmask_b32_e32 v13, v13, v10, vcc_lo
	s_delay_alu instid0(VALU_DEP_1) | instskip(NEXT) | instid1(VALU_DEP_1)
	v_sub_nc_u32_e32 v5, v9, v13
	v_cmp_gt_i32_e32 vcc_lo, 1, v5
	s_or_b32 s39, vcc_lo, s39
	s_delay_alu instid0(SALU_CYCLE_1)
	s_and_not1_b32 exec_lo, exec_lo, s39
	s_cbranch_execnz .LBB5_22
; %bb.23:                               ;   in Loop: Header=BB5_9 Depth=2
	s_or_b32 exec_lo, exec_lo, s39
	s_branch .LBB5_25
.LBB5_24:                               ;   in Loop: Header=BB5_9 Depth=2
	v_mov_b32_e32 v13, 0
.LBB5_25:                               ;   in Loop: Header=BB5_9 Depth=2
	v_mad_u64_u32 v[7:8], null, 0xd2511f53, v14, 0
	v_cndmask_b32_e64 v5, 0, v12, s1
	v_mad_u64_u32 v[9:10], null, 0xcd9e8d57, v3, 0
	s_delay_alu instid0(VALU_DEP_4) | instskip(SKIP_1) | instid1(VALU_DEP_3)
	v_cmp_eq_u32_e32 vcc_lo, s12, v13
	s_mov_b32 s39, exec_lo
	v_add_nc_u32_e32 v17, v5, v17
	v_xor_b32_e32 v5, v8, v2
	s_delay_alu instid0(VALU_DEP_4) | instskip(NEXT) | instid1(VALU_DEP_2)
	v_xor3_b32 v8, v10, v1, v18
	v_xor_b32_e32 v5, v17, v5
	s_delay_alu instid0(VALU_DEP_2) | instskip(NEXT) | instid1(VALU_DEP_2)
	v_mad_u64_u32 v[37:38], null, 0xd2511f53, v8, 0
	v_mad_u64_u32 v[35:36], null, 0xcd9e8d57, v5, 0
	s_delay_alu instid0(VALU_DEP_2) | instskip(NEXT) | instid1(VALU_DEP_2)
	v_xor3_b32 v12, v16, v38, v7
	v_xor3_b32 v5, v15, v36, v9
	s_delay_alu instid0(VALU_DEP_2) | instskip(NEXT) | instid1(VALU_DEP_2)
	v_mad_u64_u32 v[9:10], null, 0xcd9e8d57, v12, 0
	v_mad_u64_u32 v[7:8], null, 0xd2511f53, v5, 0
	s_delay_alu instid0(VALU_DEP_1) | instskip(NEXT) | instid1(VALU_DEP_3)
	v_xor3_b32 v5, v19, v8, v37
	v_xor3_b32 v8, v20, v10, v35
	s_delay_alu instid0(VALU_DEP_2) | instskip(NEXT) | instid1(VALU_DEP_2)
	v_mad_u64_u32 v[35:36], null, 0xcd9e8d57, v5, 0
	v_mad_u64_u32 v[37:38], null, 0xd2511f53, v8, 0
	s_delay_alu instid0(VALU_DEP_2) | instskip(NEXT) | instid1(VALU_DEP_2)
	v_xor3_b32 v5, v21, v36, v9
	v_xor3_b32 v12, v22, v38, v7
	s_delay_alu instid0(VALU_DEP_2) | instskip(NEXT) | instid1(VALU_DEP_2)
	v_mad_u64_u32 v[7:8], null, 0xd2511f53, v5, 0
	v_mad_u64_u32 v[9:10], null, 0xcd9e8d57, v12, 0
	s_delay_alu instid0(VALU_DEP_2) | instskip(NEXT) | instid1(VALU_DEP_2)
	;; [unrolled: 6-line block ×6, first 2 shown]
	v_xor3_b32 v5, v31, v39, v37
	v_xor3_b32 v12, v32, v41, v35
	s_delay_alu instid0(VALU_DEP_2) | instskip(NEXT) | instid1(VALU_DEP_2)
	v_mad_u64_u32 v[9:10], null, 0xcd9e8d57, v5, 0
	v_mad_u64_u32 v[7:8], null, 0xd2511f53, v12, 0
	v_cndmask_b32_e64 v5, v13, s21, vcc_lo
	s_delay_alu instid0(VALU_DEP_3) | instskip(NEXT) | instid1(VALU_DEP_3)
	v_xor3_b32 v10, v10, v40, v0
	v_xor3_b32 v8, v8, v38, v33
	s_delay_alu instid0(VALU_DEP_3)
	v_cmpx_lt_i32_e32 0, v5
	s_cbranch_execz .LBB5_31
; %bb.26:                               ;   in Loop: Header=BB5_9 Depth=2
	v_lshlrev_b64 v[12:13], 3, v[5:6]
	s_mov_b32 s40, 0
                                        ; implicit-def: $sgpr41
	s_delay_alu instid0(VALU_DEP_1) | instskip(NEXT) | instid1(VALU_DEP_2)
	v_add_co_u32 v12, vcc_lo, s34, v12
	v_add_co_ci_u32_e32 v13, vcc_lo, s36, v13, vcc_lo
	s_branch .LBB5_28
	.p2align	6
.LBB5_27:                               ;   in Loop: Header=BB5_28 Depth=3
	s_or_b32 exec_lo, exec_lo, s42
	v_dual_mov_b32 v36, v5 :: v_dual_mov_b32 v5, v35
	s_and_b32 s1, exec_lo, s41
	s_delay_alu instid0(SALU_CYCLE_1) | instskip(NEXT) | instid1(SALU_CYCLE_1)
	s_or_b32 s40, s1, s40
	s_and_not1_b32 exec_lo, exec_lo, s40
	s_cbranch_execz .LBB5_30
.LBB5_28:                               ;   Parent Loop BB5_5 Depth=1
                                        ;     Parent Loop BB5_9 Depth=2
                                        ; =>    This Inner Loop Header: Depth=3
	global_load_b64 v[35:36], v[12:13], off
	s_or_b32 s41, s41, exec_lo
	s_waitcnt vmcnt(0)
	v_cmp_eq_f64_e32 vcc_lo, 0, v[35:36]
                                        ; implicit-def: $vgpr35
	s_and_saveexec_b32 s42, vcc_lo
	s_cbranch_execz .LBB5_27
; %bb.29:                               ;   in Loop: Header=BB5_28 Depth=3
	v_cmp_gt_u32_e32 vcc_lo, 2, v5
	v_add_co_u32 v12, s1, v12, -8
	v_add_nc_u32_e32 v35, -1, v5
	v_add_co_ci_u32_e64 v13, s1, -1, v13, s1
	v_mov_b32_e32 v5, 0
	s_and_not1_b32 s1, s41, exec_lo
	s_and_b32 s41, vcc_lo, exec_lo
	s_delay_alu instid0(SALU_CYCLE_1)
	s_or_b32 s41, s1, s41
	s_branch .LBB5_27
.LBB5_30:                               ;   in Loop: Header=BB5_9 Depth=2
	s_or_b32 exec_lo, exec_lo, s40
	v_mov_b32_e32 v5, v36
.LBB5_31:                               ;   in Loop: Header=BB5_9 Depth=2
	s_or_b32 exec_lo, exec_lo, s39
	v_ashrrev_i32_e32 v12, 31, v11
	s_delay_alu instid0(VALU_DEP_2) | instskip(SKIP_2) | instid1(VALU_DEP_3)
	v_ashrrev_i32_e32 v36, 31, v5
	v_mov_b32_e32 v35, v5
	s_mov_b32 s39, 0
	v_lshlrev_b64 v[12:13], 3, v[11:12]
	v_add_nc_u32_e32 v11, s23, v11
	s_delay_alu instid0(VALU_DEP_1) | instskip(NEXT) | instid1(VALU_DEP_3)
	v_cmp_le_i32_e64 s1, s18, v11
	v_add_co_u32 v12, vcc_lo, s31, v12
	s_delay_alu instid0(VALU_DEP_4)
	v_add_co_ci_u32_e32 v13, vcc_lo, s33, v13, vcc_lo
	global_store_b64 v[12:13], v[35:36], off
	s_branch .LBB5_8
.LBB5_32:                               ;   in Loop: Header=BB5_5 Depth=1
	s_or_b32 exec_lo, exec_lo, s35
	s_delay_alu instid0(SALU_CYCLE_1)
	s_and_b32 s27, s38, exec_lo
	s_or_not1_b32 s1, s37, exec_lo
.LBB5_33:                               ;   in Loop: Header=BB5_5 Depth=1
	s_or_b32 exec_lo, exec_lo, s26
	s_delay_alu instid0(SALU_CYCLE_1)
	s_and_not1_b32 s25, s25, exec_lo
	s_and_b32 s27, s27, exec_lo
	s_mov_b32 s26, -1
	s_or_b32 s25, s25, s27
	s_and_saveexec_b32 s27, s1
	s_cbranch_execz .LBB5_4
; %bb.34:                               ;   in Loop: Header=BB5_5 Depth=1
	s_load_b32 s1, s[16:17], 0x4
	s_waitcnt lgkmcnt(0)
	s_add_u32 s2, s2, s1
	s_addc_u32 s3, s3, 0
	s_and_not1_b32 s25, s25, exec_lo
	v_cmp_ge_i64_e64 s1, s[2:3], s[6:7]
	s_delay_alu instid0(VALU_DEP_1)
	s_or_not1_b32 s26, s1, exec_lo
	s_branch .LBB5_4
.LBB5_35:
	s_or_b32 exec_lo, exec_lo, s19
	s_and_saveexec_b32 s0, s24
	s_delay_alu instid0(SALU_CYCLE_1)
	s_xor_b32 s0, exec_lo, s0
	s_cbranch_execnz .LBB5_37
.LBB5_36:
	s_nop 0
	s_sendmsg sendmsg(MSG_DEALLOC_VGPRS)
	s_endpgm
.LBB5_37:
	s_cbranch_execnz .LBB5_39
; %bb.38:
	; divergent unreachable
	s_nop 0
	s_sendmsg sendmsg(MSG_DEALLOC_VGPRS)
	s_endpgm
.LBB5_39:
	s_trap 2
	s_sendmsg_rtn_b32 s0, sendmsg(MSG_RTN_GET_DOORBELL)
	s_mov_b32 ttmp2, m0
	s_waitcnt lgkmcnt(0)
	s_and_b32 s0, s0, 0x3ff
	s_delay_alu instid0(SALU_CYCLE_1) | instskip(NEXT) | instid1(SALU_CYCLE_1)
	s_bitset1_b32 s0, 10
	s_mov_b32 m0, s0
	s_sendmsg sendmsg(MSG_INTERRUPT)
	s_mov_b32 m0, ttmp2
.LBB5_40:                               ; =>This Inner Loop Header: Depth=1
	s_sethalt 5
	s_branch .LBB5_40
	.section	.rodata,"a",@progbits
	.p2align	6, 0x0
	.amdhsa_kernel _ZN2at6native12_GLOBAL__N_132sampleMultinomialWithReplacementIdEEvNS_15PhiloxCudaStateEiPlliPKT_S7_
		.amdhsa_group_segment_fixed_size 0
		.amdhsa_private_segment_fixed_size 0
		.amdhsa_kernarg_size 336
		.amdhsa_user_sgpr_count 14
		.amdhsa_user_sgpr_dispatch_ptr 0
		.amdhsa_user_sgpr_queue_ptr 0
		.amdhsa_user_sgpr_kernarg_segment_ptr 1
		.amdhsa_user_sgpr_dispatch_id 0
		.amdhsa_user_sgpr_private_segment_size 0
		.amdhsa_wavefront_size32 1
		.amdhsa_uses_dynamic_stack 0
		.amdhsa_enable_private_segment 0
		.amdhsa_system_sgpr_workgroup_id_x 1
		.amdhsa_system_sgpr_workgroup_id_y 1
		.amdhsa_system_sgpr_workgroup_id_z 0
		.amdhsa_system_sgpr_workgroup_info 0
		.amdhsa_system_vgpr_workitem_id 0
		.amdhsa_next_free_vgpr 42
		.amdhsa_next_free_sgpr 43
		.amdhsa_reserve_vcc 1
		.amdhsa_float_round_mode_32 0
		.amdhsa_float_round_mode_16_64 0
		.amdhsa_float_denorm_mode_32 3
		.amdhsa_float_denorm_mode_16_64 3
		.amdhsa_dx10_clamp 1
		.amdhsa_ieee_mode 1
		.amdhsa_fp16_overflow 0
		.amdhsa_workgroup_processor_mode 1
		.amdhsa_memory_ordered 1
		.amdhsa_forward_progress 0
		.amdhsa_shared_vgpr_count 0
		.amdhsa_exception_fp_ieee_invalid_op 0
		.amdhsa_exception_fp_denorm_src 0
		.amdhsa_exception_fp_ieee_div_zero 0
		.amdhsa_exception_fp_ieee_overflow 0
		.amdhsa_exception_fp_ieee_underflow 0
		.amdhsa_exception_fp_ieee_inexact 0
		.amdhsa_exception_int_div_zero 0
	.end_amdhsa_kernel
	.section	.text._ZN2at6native12_GLOBAL__N_132sampleMultinomialWithReplacementIdEEvNS_15PhiloxCudaStateEiPlliPKT_S7_,"axG",@progbits,_ZN2at6native12_GLOBAL__N_132sampleMultinomialWithReplacementIdEEvNS_15PhiloxCudaStateEiPlliPKT_S7_,comdat
.Lfunc_end5:
	.size	_ZN2at6native12_GLOBAL__N_132sampleMultinomialWithReplacementIdEEvNS_15PhiloxCudaStateEiPlliPKT_S7_, .Lfunc_end5-_ZN2at6native12_GLOBAL__N_132sampleMultinomialWithReplacementIdEEvNS_15PhiloxCudaStateEiPlliPKT_S7_
                                        ; -- End function
	.section	.AMDGPU.csdata,"",@progbits
; Kernel info:
; codeLenInByte = 2504
; NumSgprs: 45
; NumVgprs: 42
; ScratchSize: 0
; MemoryBound: 0
; FloatMode: 240
; IeeeMode: 1
; LDSByteSize: 0 bytes/workgroup (compile time only)
; SGPRBlocks: 5
; VGPRBlocks: 5
; NumSGPRsForWavesPerEU: 45
; NumVGPRsForWavesPerEU: 42
; Occupancy: 16
; WaveLimiterHint : 0
; COMPUTE_PGM_RSRC2:SCRATCH_EN: 0
; COMPUTE_PGM_RSRC2:USER_SGPR: 14
; COMPUTE_PGM_RSRC2:TRAP_HANDLER: 0
; COMPUTE_PGM_RSRC2:TGID_X_EN: 1
; COMPUTE_PGM_RSRC2:TGID_Y_EN: 1
; COMPUTE_PGM_RSRC2:TGID_Z_EN: 0
; COMPUTE_PGM_RSRC2:TIDIG_COMP_CNT: 0
	.section	.text._ZN2at6native12_GLOBAL__N_121sampleMultinomialOnceIffEEvPlliPKT_S6_ii,"axG",@progbits,_ZN2at6native12_GLOBAL__N_121sampleMultinomialOnceIffEEvPlliPKT_S6_ii,comdat
	.globl	_ZN2at6native12_GLOBAL__N_121sampleMultinomialOnceIffEEvPlliPKT_S6_ii ; -- Begin function _ZN2at6native12_GLOBAL__N_121sampleMultinomialOnceIffEEvPlliPKT_S6_ii
	.p2align	8
	.type	_ZN2at6native12_GLOBAL__N_121sampleMultinomialOnceIffEEvPlliPKT_S6_ii,@function
_ZN2at6native12_GLOBAL__N_121sampleMultinomialOnceIffEEvPlliPKT_S6_ii: ; @_ZN2at6native12_GLOBAL__N_121sampleMultinomialOnceIffEEvPlliPKT_S6_ii
; %bb.0:
	s_load_b128 s[8:11], s[0:1], 0x0
	s_mov_b32 s16, s15
	s_mov_b32 s17, 0
	s_waitcnt lgkmcnt(0)
	v_cmp_ge_i64_e64 s2, s[16:17], s[10:11]
	s_delay_alu instid0(VALU_DEP_1)
	s_and_b32 vcc_lo, exec_lo, s2
	s_cbranch_vccnz .LBB6_88
; %bb.1:
	s_clause 0x2
	s_load_b64 s[18:19], s[0:1], 0x28
	s_load_b32 s24, s[0:1], 0x10
	s_load_b128 s[12:15], s[0:1], 0x18
	v_lshrrev_b32_e32 v4, 3, v0
	v_dual_mov_b32 v2, 0 :: v_dual_and_b32 v1, 31, v0
	v_dual_mov_b32 v14, 8 :: v_dual_lshlrev_b32 v5, 2, v0
	s_delay_alu instid0(VALU_DEP_3)
	v_add_nc_u32_e32 v13, 8, v4
	v_cmp_gt_u32_e64 s2, 32, v0
	v_cmp_eq_u32_e64 s3, 0, v0
	v_cmp_ne_u32_e64 s4, 0, v0
	v_mbcnt_lo_u32_b32 v9, -1, 0
	v_cmp_eq_u32_e64 s5, 0, v1
	v_lshl_add_u32 v10, v1, 2, 8
	v_add_nc_u32_e32 v11, 8, v5
	v_add3_u32 v12, 8, -4, v5
	v_mov_b32_e32 v15, 1
	s_mov_b64 s[22:23], s[16:17]
                                        ; implicit-def: $sgpr28
                                        ; implicit-def: $sgpr30
                                        ; implicit-def: $sgpr29
                                        ; implicit-def: $sgpr31
                                        ; implicit-def: $sgpr16
                                        ; implicit-def: $sgpr33
                                        ; implicit-def: $sgpr36
                                        ; implicit-def: $sgpr34
                                        ; implicit-def: $sgpr37
                                        ; implicit-def: $sgpr35
                                        ; implicit-def: $vgpr16
	s_waitcnt lgkmcnt(0)
	v_mul_lo_u32 v3, v0, s19
	s_ashr_i32 s25, s18, 31
	v_cmp_gt_i32_e64 s6, s24, v0
	s_add_u32 s20, s0, 48
	s_addc_u32 s21, s1, 0
	s_add_i32 s26, s24, -1
	s_delay_alu instid0(SALU_CYCLE_1) | instskip(NEXT) | instid1(VALU_DEP_2)
	s_mul_i32 s27, s19, s26
	v_ashrrev_i32_e32 v4, 31, v3
	s_delay_alu instid0(VALU_DEP_1)
	v_lshlrev_b64 v[3:4], 2, v[3:4]
	s_branch .LBB6_5
.LBB6_2:                                ;   in Loop: Header=BB6_5 Depth=1
	s_or_b32 exec_lo, exec_lo, s1
	s_add_u32 s22, s22, s39
	s_addc_u32 s23, s23, 0
	s_and_not1_b32 s42, s42, exec_lo
	v_cmp_ge_i64_e64 s0, s[22:23], s[10:11]
	s_and_not1_b32 s41, s41, exec_lo
	s_and_not1_b32 s40, s40, exec_lo
	;; [unrolled: 1-line block ×4, first 2 shown]
	s_delay_alu instid0(VALU_DEP_1)
	s_or_not1_b32 s1, s0, exec_lo
.LBB6_3:                                ;   in Loop: Header=BB6_5 Depth=1
	s_or_b32 exec_lo, exec_lo, s45
	s_delay_alu instid0(SALU_CYCLE_1)
	s_and_not1_b32 s0, s35, exec_lo
	s_and_b32 s7, s42, exec_lo
	s_and_not1_b32 s34, s34, exec_lo
	s_or_b32 s35, s0, s7
	s_and_not1_b32 s0, s37, exec_lo
	s_and_b32 s7, s41, exec_lo
	s_and_b32 s39, s40, exec_lo
	s_or_b32 s37, s0, s7
	s_or_b32 s34, s34, s39
	s_and_not1_b32 s0, s36, exec_lo
	s_and_b32 s7, s44, exec_lo
	s_and_not1_b32 s33, s33, exec_lo
	s_and_b32 s39, s43, exec_lo
	s_or_b32 s36, s0, s7
	s_or_b32 s33, s33, s39
	s_or_not1_b32 s0, s1, exec_lo
.LBB6_4:                                ;   in Loop: Header=BB6_5 Depth=1
	s_or_b32 exec_lo, exec_lo, s38
	s_delay_alu instid0(SALU_CYCLE_1) | instskip(NEXT) | instid1(SALU_CYCLE_1)
	s_and_b32 s0, exec_lo, s0
	s_or_b32 s17, s0, s17
	s_and_not1_b32 s0, s16, exec_lo
	s_and_b32 s1, s35, exec_lo
	s_and_not1_b32 s7, s31, exec_lo
	s_or_b32 s16, s0, s1
	s_and_b32 s0, s37, exec_lo
	s_and_not1_b32 s1, s29, exec_lo
	s_and_b32 s29, s34, exec_lo
	s_or_b32 s31, s7, s0
	s_or_b32 s29, s1, s29
	s_and_not1_b32 s0, s30, exec_lo
	s_and_b32 s1, s36, exec_lo
	s_and_not1_b32 s7, s28, exec_lo
	s_and_b32 s28, s33, exec_lo
	s_or_b32 s30, s0, s1
	s_or_b32 s28, s7, s28
	s_and_not1_b32 exec_lo, exec_lo, s17
	s_cbranch_execz .LBB6_73
.LBB6_5:                                ; =>This Loop Header: Depth=1
                                        ;     Child Loop BB6_14 Depth 2
                                        ;     Child Loop BB6_42 Depth 2
                                        ;       Child Loop BB6_47 Depth 3
                                        ;       Child Loop BB6_55 Depth 3
                                        ;     Child Loop BB6_62 Depth 2
	s_waitcnt lgkmcnt(0)
	v_mov_b32_e32 v1, 0
	s_mov_b32 s1, -1
                                        ; implicit-def: $sgpr7
                                        ; implicit-def: $sgpr38
                                        ; implicit-def: $sgpr39
                                        ; implicit-def: $sgpr41
	s_and_saveexec_b32 s0, s6
	s_cbranch_execz .LBB6_23
; %bb.6:                                ;   in Loop: Header=BB6_5 Depth=1
	s_mul_i32 s1, s22, s25
	s_mul_hi_u32 s7, s22, s18
	s_mul_i32 s38, s22, s18
	s_add_i32 s1, s7, s1
	s_mul_i32 s7, s23, s18
	v_mov_b32_e32 v1, 0
	s_add_i32 s39, s1, s7
	s_mov_b32 s7, -1
	s_lshl_b64 s[38:39], s[38:39], 2
	s_mov_b32 s40, 0
	s_add_u32 s38, s14, s38
	s_addc_u32 s39, s15, s39
	v_add_co_u32 v5, vcc_lo, s38, v3
	v_add_co_ci_u32_e32 v6, vcc_lo, s39, v4, vcc_lo
	s_mov_b32 s43, 0
	s_mov_b32 s44, 0
	;; [unrolled: 1-line block ×3, first 2 shown]
	global_load_b32 v16, v[5:6], off
	s_mov_b32 s1, exec_lo
	s_waitcnt vmcnt(0)
	v_cmpx_o_f32_e32 v16, v16
	s_cbranch_execz .LBB6_22
; %bb.7:                                ;   in Loop: Header=BB6_5 Depth=1
	v_mov_b32_e32 v1, 0
	s_mov_b32 s40, -1
	s_mov_b32 s41, 0
	s_mov_b32 s42, 0
	;; [unrolled: 1-line block ×3, first 2 shown]
	s_mov_b32 s7, exec_lo
	v_cmpx_neq_f32_e64 0x7f800000, |v16|
	s_cbranch_execz .LBB6_21
; %bb.8:                                ;   in Loop: Header=BB6_5 Depth=1
	v_mov_b32_e32 v1, 0
	s_mov_b32 s42, -1
	s_mov_b32 s40, exec_lo
	v_cmpx_ngt_f32_e32 0, v16
	s_cbranch_execz .LBB6_20
; %bb.9:                                ;   in Loop: Header=BB6_5 Depth=1
	s_load_b32 s41, s[20:21], 0xc
	v_add_f32_e32 v1, 0, v16
	s_mov_b32 s43, -1
	s_mov_b32 s47, -1
	s_mov_b32 s49, 0
	s_waitcnt lgkmcnt(0)
	s_and_b32 s42, s41, 0xffff
	s_mov_b32 s41, exec_lo
	v_add_nc_u32_e32 v7, s42, v0
	s_delay_alu instid0(VALU_DEP_1)
	v_cmpx_gt_i32_e64 s24, v7
	s_cbranch_execz .LBB6_19
; %bb.10:                               ;   in Loop: Header=BB6_5 Depth=1
	v_mul_lo_u32 v5, s19, v7
	s_mul_i32 s45, s19, s42
                                        ; implicit-def: $sgpr43
                                        ; implicit-def: $sgpr49
                                        ; implicit-def: $sgpr47
                                        ; implicit-def: $sgpr48
                                        ; implicit-def: $sgpr46
                                        ; implicit-def: $sgpr50
                                        ; implicit-def: $sgpr52
                                        ; implicit-def: $sgpr51
                                        ; implicit-def: $sgpr54
                                        ; implicit-def: $sgpr53
                                        ; implicit-def: $sgpr55
	s_branch .LBB6_14
.LBB6_11:                               ;   in Loop: Header=BB6_14 Depth=2
	s_or_b32 exec_lo, exec_lo, s59
	s_delay_alu instid0(SALU_CYCLE_1)
	s_mov_b32 s59, exec_lo
	s_or_not1_b32 s62, s61, exec_lo
	s_xor_b32 s61, exec_lo, -1
	s_or_not1_b32 s60, s60, exec_lo
.LBB6_12:                               ;   in Loop: Header=BB6_14 Depth=2
	s_or_b32 exec_lo, exec_lo, s58
	s_delay_alu instid0(SALU_CYCLE_1)
	s_and_not1_b32 s55, s55, exec_lo
	s_and_b32 s58, s62, exec_lo
	s_and_not1_b32 s54, s54, exec_lo
	s_or_b32 s55, s55, s58
	s_and_b32 s58, s61, exec_lo
	s_and_not1_b32 s53, s53, exec_lo
	s_and_b32 s57, s57, exec_lo
	s_and_not1_b32 s51, s51, exec_lo
	s_and_b32 s59, s59, exec_lo
	s_or_b32 s54, s54, s58
	s_and_not1_b32 s52, s52, exec_lo
	s_and_not1_b32 s50, s50, exec_lo
	s_and_b32 s58, s60, exec_lo
	s_or_b32 s53, s53, s57
	s_or_b32 s51, s51, s59
	s_or_b32 s52, s52, s57
	s_or_b32 s50, s50, s58
.LBB6_13:                               ;   in Loop: Header=BB6_14 Depth=2
	s_or_b32 exec_lo, exec_lo, s56
	s_xor_b32 s56, s55, -1
	s_and_b32 s57, exec_lo, s50
	s_delay_alu instid0(SALU_CYCLE_1)
	s_or_b32 s44, s57, s44
	s_and_not1_b32 s46, s46, exec_lo
	s_and_b32 s57, s53, exec_lo
	s_and_not1_b32 s48, s48, exec_lo
	s_or_b32 s46, s46, s57
	s_and_b32 s57, s54, exec_lo
	s_and_not1_b32 s47, s47, exec_lo
	s_and_b32 s58, s51, exec_lo
	s_or_b32 s48, s48, s57
	s_and_not1_b32 s49, s49, exec_lo
	s_and_b32 s57, s52, exec_lo
	s_and_not1_b32 s43, s43, exec_lo
	s_and_b32 s56, s56, exec_lo
	s_or_b32 s47, s47, s58
	s_or_b32 s49, s49, s57
	;; [unrolled: 1-line block ×3, first 2 shown]
	s_and_not1_b32 exec_lo, exec_lo, s44
	s_cbranch_execz .LBB6_18
.LBB6_14:                               ;   Parent Loop BB6_5 Depth=1
                                        ; =>  This Inner Loop Header: Depth=2
	s_delay_alu instid0(VALU_DEP_1)
	v_ashrrev_i32_e32 v6, 31, v5
	s_or_b32 s55, s55, exec_lo
	s_or_b32 s53, s53, exec_lo
	s_and_not1_b32 s54, s54, exec_lo
	s_and_not1_b32 s51, s51, exec_lo
	v_lshlrev_b64 v[16:17], 2, v[5:6]
	s_and_not1_b32 s52, s52, exec_lo
	s_or_b32 s50, s50, exec_lo
	s_mov_b32 s56, exec_lo
	s_delay_alu instid0(VALU_DEP_1) | instskip(NEXT) | instid1(VALU_DEP_2)
	v_add_co_u32 v16, vcc_lo, s38, v16
	v_add_co_ci_u32_e32 v17, vcc_lo, s39, v17, vcc_lo
	global_load_b32 v16, v[16:17], off
	s_waitcnt vmcnt(0)
	v_cmpx_o_f32_e32 v16, v16
	s_cbranch_execz .LBB6_13
; %bb.15:                               ;   in Loop: Header=BB6_14 Depth=2
	s_mov_b32 s57, 0
	s_mov_b32 s60, -1
	s_mov_b32 s59, 0
	s_mov_b32 s61, -1
	s_mov_b32 s62, -1
	s_mov_b32 s58, exec_lo
	v_cmpx_neq_f32_e64 0x7f800000, |v16|
	s_cbranch_execz .LBB6_12
; %bb.16:                               ;   in Loop: Header=BB6_14 Depth=2
	s_mov_b32 s59, exec_lo
	v_cmpx_ngt_f32_e32 0, v16
	s_cbranch_execz .LBB6_11
; %bb.17:                               ;   in Loop: Header=BB6_14 Depth=2
	v_add_nc_u32_e32 v7, s42, v7
	v_add_f32_e32 v1, v1, v16
	v_add_nc_u32_e32 v5, s45, v5
	s_xor_b32 s61, exec_lo, -1
	s_delay_alu instid0(VALU_DEP_3)
	v_cmp_le_i32_e32 vcc_lo, s24, v7
	s_or_not1_b32 s60, vcc_lo, exec_lo
	s_branch .LBB6_11
.LBB6_18:                               ;   in Loop: Header=BB6_5 Depth=1
	s_or_b32 exec_lo, exec_lo, s44
	s_delay_alu instid0(SALU_CYCLE_1)
	s_and_b32 s49, s49, exec_lo
	s_or_not1_b32 s47, s47, exec_lo
	s_and_b32 s45, s48, exec_lo
	s_and_b32 s44, s46, exec_lo
	s_or_not1_b32 s43, s43, exec_lo
.LBB6_19:                               ;   in Loop: Header=BB6_5 Depth=1
	s_or_b32 exec_lo, exec_lo, s41
	s_delay_alu instid0(SALU_CYCLE_1)
	s_and_b32 s46, s49, exec_lo
	s_or_not1_b32 s42, s47, exec_lo
	s_and_b32 s45, s45, exec_lo
	s_and_b32 s44, s44, exec_lo
	s_and_b32 s41, s43, exec_lo
.LBB6_20:                               ;   in Loop: Header=BB6_5 Depth=1
	s_or_b32 exec_lo, exec_lo, s40
	s_delay_alu instid0(SALU_CYCLE_1)
	s_and_b32 s46, s46, exec_lo
	s_and_b32 s43, s42, exec_lo
	s_or_not1_b32 s40, s45, exec_lo
	s_and_b32 s42, s44, exec_lo
	s_and_b32 s41, s41, exec_lo
.LBB6_21:                               ;   in Loop: Header=BB6_5 Depth=1
	s_or_b32 exec_lo, exec_lo, s7
	s_delay_alu instid0(SALU_CYCLE_1)
	s_and_b32 s45, s46, exec_lo
	s_and_b32 s44, s43, exec_lo
	;; [unrolled: 1-line block ×3, first 2 shown]
	s_or_not1_b32 s7, s42, exec_lo
	s_and_b32 s40, s41, exec_lo
.LBB6_22:                               ;   in Loop: Header=BB6_5 Depth=1
	s_or_b32 exec_lo, exec_lo, s1
	s_delay_alu instid0(SALU_CYCLE_1)
	s_and_b32 s41, s45, exec_lo
	s_and_b32 s39, s44, exec_lo
	;; [unrolled: 1-line block ×4, first 2 shown]
	s_or_not1_b32 s1, s40, exec_lo
.LBB6_23:                               ;   in Loop: Header=BB6_5 Depth=1
	s_or_b32 exec_lo, exec_lo, s0
	s_delay_alu instid0(SALU_CYCLE_1)
	s_and_not1_b32 s35, s35, exec_lo
	s_and_b32 s40, s41, exec_lo
	s_and_not1_b32 s37, s37, exec_lo
	s_and_not1_b32 s34, s34, exec_lo
	s_and_b32 s39, s39, exec_lo
	s_and_not1_b32 s36, s36, exec_lo
	s_and_b32 s38, s38, exec_lo
	;; [unrolled: 2-line block ×3, first 2 shown]
	s_mov_b32 s0, -1
	s_or_b32 s35, s35, s40
	s_or_b32 s37, s37, s40
	;; [unrolled: 1-line block ×5, first 2 shown]
	s_and_saveexec_b32 s38, s1
	s_cbranch_execz .LBB6_4
; %bb.24:                               ;   in Loop: Header=BB6_5 Depth=1
	v_cmp_gt_u32_e32 vcc_lo, 16, v9
	s_waitcnt_vscnt null, 0x0
	s_barrier
	buffer_gl0_inv
	v_cndmask_b32_e64 v5, 0, 1, vcc_lo
	v_cmp_gt_u32_e32 vcc_lo, 24, v9
	s_delay_alu instid0(VALU_DEP_2) | instskip(SKIP_2) | instid1(VALU_DEP_3)
	v_lshlrev_b32_e32 v5, 4, v5
	v_cndmask_b32_e64 v6, 0, 1, vcc_lo
	v_cmp_gt_u32_e32 vcc_lo, 28, v9
	v_add_lshl_u32 v5, v5, v9, 2
	ds_bpermute_b32 v7, v5, v1
	s_waitcnt lgkmcnt(0)
	v_dual_add_f32 v1, v1, v7 :: v_dual_lshlrev_b32 v6, 3, v6
	s_delay_alu instid0(VALU_DEP_1) | instskip(SKIP_4) | instid1(VALU_DEP_1)
	v_add_lshl_u32 v6, v6, v9, 2
	v_cndmask_b32_e64 v7, 0, 1, vcc_lo
	v_cmp_gt_u32_e32 vcc_lo, 30, v9
	ds_bpermute_b32 v8, v6, v1
	v_lshlrev_b32_e32 v7, 2, v7
	v_add_lshl_u32 v7, v7, v9, 2
	s_waitcnt lgkmcnt(0)
	v_add_f32_e32 v1, v1, v8
	v_cndmask_b32_e64 v8, 0, 1, vcc_lo
	v_cmp_ne_u32_e32 vcc_lo, 31, v9
	ds_bpermute_b32 v17, v7, v1
	v_lshlrev_b32_e32 v8, 1, v8
	v_add_co_ci_u32_e32 v18, vcc_lo, 0, v9, vcc_lo
	s_waitcnt lgkmcnt(0)
	v_add_f32_e32 v1, v1, v17
	s_delay_alu instid0(VALU_DEP_3)
	v_add_lshl_u32 v8, v8, v9, 2
	ds_bpermute_b32 v17, v8, v1
	s_waitcnt lgkmcnt(0)
	v_add_f32_e32 v1, v1, v17
	v_lshlrev_b32_e32 v17, 2, v18
	ds_bpermute_b32 v18, v17, v1
	s_and_saveexec_b32 s0, s5
	s_cbranch_execz .LBB6_26
; %bb.25:                               ;   in Loop: Header=BB6_5 Depth=1
	s_waitcnt lgkmcnt(0)
	v_add_f32_e32 v1, v1, v18
	ds_store_b32 v13, v1
.LBB6_26:                               ;   in Loop: Header=BB6_5 Depth=1
	s_or_b32 exec_lo, exec_lo, s0
	s_waitcnt lgkmcnt(0)
	s_barrier
	buffer_gl0_inv
	s_clause 0x1
	s_load_b32 s0, s[20:21], 0xc
	s_load_b32 s39, s[20:21], 0x0
	v_mov_b32_e32 v1, 0
	s_waitcnt lgkmcnt(0)
	s_bfe_u32 s1, s0, 0xb0005
	s_delay_alu instid0(SALU_CYCLE_1)
	v_cmp_gt_u32_e32 vcc_lo, s1, v0
	s_and_saveexec_b32 s1, vcc_lo
	s_cbranch_execz .LBB6_28
; %bb.27:                               ;   in Loop: Header=BB6_5 Depth=1
	ds_load_b32 v1, v10
.LBB6_28:                               ;   in Loop: Header=BB6_5 Depth=1
	s_or_b32 exec_lo, exec_lo, s1
	s_and_saveexec_b32 s1, s2
	s_cbranch_execz .LBB6_30
; %bb.29:                               ;   in Loop: Header=BB6_5 Depth=1
	s_waitcnt lgkmcnt(0)
	ds_bpermute_b32 v5, v5, v1
	s_waitcnt lgkmcnt(0)
	v_add_f32_e32 v1, v1, v5
	ds_bpermute_b32 v5, v6, v1
	s_waitcnt lgkmcnt(0)
	v_add_f32_e32 v1, v1, v5
	;; [unrolled: 3-line block ×5, first 2 shown]
.LBB6_30:                               ;   in Loop: Header=BB6_5 Depth=1
	s_or_b32 exec_lo, exec_lo, s1
	s_mov_b32 s1, -1
	s_mov_b32 s46, -1
                                        ; implicit-def: $sgpr41
                                        ; implicit-def: $sgpr42
                                        ; implicit-def: $sgpr40
                                        ; implicit-def: $sgpr44
                                        ; implicit-def: $sgpr43
	s_and_saveexec_b32 s7, s3
	s_cbranch_execz .LBB6_36
; %bb.31:                               ;   in Loop: Header=BB6_5 Depth=1
	s_mov_b32 s43, -1
	s_mov_b32 s40, 0
	s_mov_b32 s44, 0
	;; [unrolled: 1-line block ×3, first 2 shown]
	s_mov_b32 s41, exec_lo
	v_cmpx_neq_f32_e64 0x7f800000, |v16|
	s_cbranch_execz .LBB6_35
; %bb.32:                               ;   in Loop: Header=BB6_5 Depth=1
	s_mov_b32 s42, 0
	s_mov_b32 s43, exec_lo
	s_waitcnt lgkmcnt(0)
	v_cmpx_lt_f32_e32 0, v1
	s_cbranch_execz .LBB6_34
; %bb.33:                               ;   in Loop: Header=BB6_5 Depth=1
	s_lshl_b64 s[44:45], s[22:23], 2
	s_mov_b32 s42, exec_lo
	s_add_u32 s44, s12, s44
	s_addc_u32 s45, s13, s45
	global_load_b32 v5, v2, s[44:45]
	ds_store_b32 v2, v2
	s_waitcnt vmcnt(0)
	ds_store_2addr_b32 v14, v1, v5 offset1:1
.LBB6_34:                               ;   in Loop: Header=BB6_5 Depth=1
	s_or_b32 exec_lo, exec_lo, s43
	s_delay_alu instid0(SALU_CYCLE_1)
	s_mov_b32 s45, exec_lo
	s_xor_b32 s43, exec_lo, -1
	s_and_b32 s44, s42, exec_lo
.LBB6_35:                               ;   in Loop: Header=BB6_5 Depth=1
	s_or_b32 exec_lo, exec_lo, s41
	s_delay_alu instid0(SALU_CYCLE_1)
	s_and_b32 s42, s45, exec_lo
	s_and_b32 s41, s43, exec_lo
	s_or_not1_b32 s46, s44, exec_lo
	s_mov_b32 s44, 0
	s_mov_b32 s43, 0
.LBB6_36:                               ;   in Loop: Header=BB6_5 Depth=1
	s_or_b32 exec_lo, exec_lo, s7
	s_and_saveexec_b32 s45, s46
	s_cbranch_execz .LBB6_3
; %bb.37:                               ;   in Loop: Header=BB6_5 Depth=1
	s_waitcnt lgkmcnt(0)
	s_barrier
	buffer_gl0_inv
	ds_load_2addr_b32 v[5:6], v14 offset1:1
	s_waitcnt lgkmcnt(0)
	s_barrier
	buffer_gl0_inv
	v_cmp_neq_f32_e32 vcc_lo, 0, v5
	s_cbranch_vccz .LBB6_65
; %bb.38:                               ;   in Loop: Header=BB6_5 Depth=1
	s_and_b32 s46, s0, 0xffff
	ds_store_b8 v2, v2 offset:4
	v_cvt_f32_u32_e32 v1, s46
	s_sub_i32 s1, 0, s46
	s_add_i32 s7, s26, s46
	s_delay_alu instid0(VALU_DEP_1) | instskip(SKIP_2) | instid1(VALU_DEP_1)
	v_rcp_iflag_f32_e32 v1, v1
	s_waitcnt_depctr 0xfff
	v_mul_f32_e32 v1, 0x4f7ffffe, v1
	v_cvt_u32_f32_e32 v1, v1
	s_delay_alu instid0(VALU_DEP_1) | instskip(NEXT) | instid1(VALU_DEP_1)
	v_readfirstlane_b32 s0, v1
	s_mul_i32 s1, s1, s0
	s_delay_alu instid0(SALU_CYCLE_1) | instskip(NEXT) | instid1(SALU_CYCLE_1)
	s_mul_hi_u32 s1, s0, s1
	s_add_i32 s0, s0, s1
	s_delay_alu instid0(SALU_CYCLE_1) | instskip(NEXT) | instid1(SALU_CYCLE_1)
	s_mul_hi_u32 s0, s7, s0
	s_mul_i32 s1, s0, s46
	s_delay_alu instid0(SALU_CYCLE_1)
	s_sub_i32 s1, s7, s1
	s_add_i32 s7, s0, 1
	s_sub_i32 s47, s1, s46
	s_cmp_ge_u32 s1, s46
	s_cselect_b32 s0, s7, s0
	s_cselect_b32 s1, s47, s1
	s_add_i32 s7, s0, 1
	s_cmp_ge_u32 s1, s46
	s_cselect_b32 s47, s7, s0
	s_mov_b32 s0, 0
	s_cmp_lt_i32 s47, 1
	s_cbranch_scc1 .LBB6_58
; %bb.39:                               ;   in Loop: Header=BB6_5 Depth=1
	s_mul_i32 s0, s22, s25
	s_mul_hi_u32 s1, s22, s18
	s_mul_i32 s7, s23, s18
	s_add_i32 s1, s1, s0
	s_mul_i32 s0, s22, s18
	s_add_i32 s1, s1, s7
	v_mov_b32_e32 v1, 0
	s_lshl_b64 s[0:1], s[0:1], 2
	s_mov_b32 s52, 0
	s_add_u32 s48, s14, s0
	s_addc_u32 s49, s15, s1
	s_cmp_gt_u32 s46, 1
	s_cselect_b32 s50, -1, 0
	s_lshl_b32 s0, s46, 2
	s_delay_alu instid0(SALU_CYCLE_1) | instskip(NEXT) | instid1(SALU_CYCLE_1)
	s_add_i32 s51, s0, 8
	s_add_i32 s51, s51, -4
	s_branch .LBB6_42
.LBB6_40:                               ;   in Loop: Header=BB6_42 Depth=2
	s_or_b32 exec_lo, exec_lo, s7
	ds_store_b8 v2, v15 offset:4
.LBB6_41:                               ;   in Loop: Header=BB6_42 Depth=2
	s_or_b32 exec_lo, exec_lo, s0
	v_mov_b32_e32 v7, s51
	s_add_i32 s52, s52, 1
	s_delay_alu instid0(SALU_CYCLE_1)
	s_cmp_ge_i32 s52, s47
	s_cselect_b32 s1, -1, 0
	ds_load_b32 v7, v7
	s_waitcnt lgkmcnt(0)
	s_barrier
	buffer_gl0_inv
	ds_load_u8 v8, v2 offset:4
	v_add_f32_e32 v1, v1, v7
	s_waitcnt lgkmcnt(0)
	v_readfirstlane_b32 s0, v8
	s_delay_alu instid0(VALU_DEP_1) | instskip(SKIP_1) | instid1(SALU_CYCLE_1)
	s_bitcmp1_b32 s0, 0
	s_cselect_b32 s0, -1, 0
	s_or_b32 s1, s1, s0
	s_delay_alu instid0(SALU_CYCLE_1)
	s_and_b32 vcc_lo, exec_lo, s1
	s_cbranch_vccnz .LBB6_58
.LBB6_42:                               ;   Parent Loop BB6_5 Depth=1
                                        ; =>  This Loop Header: Depth=2
                                        ;       Child Loop BB6_47 Depth 3
                                        ;       Child Loop BB6_55 Depth 3
	v_mad_u64_u32 v[7:8], null, s52, s46, v[0:1]
	v_mov_b32_e32 v8, 0
	s_delay_alu instid0(VALU_DEP_2) | instskip(NEXT) | instid1(VALU_DEP_1)
	v_cmp_gt_i32_e64 s0, s24, v7
	s_and_saveexec_b32 s1, s0
	s_cbranch_execz .LBB6_44
; %bb.43:                               ;   in Loop: Header=BB6_42 Depth=2
	v_mul_lo_u32 v17, v7, s19
	s_delay_alu instid0(VALU_DEP_1) | instskip(NEXT) | instid1(VALU_DEP_1)
	v_ashrrev_i32_e32 v18, 31, v17
	v_lshlrev_b64 v[17:18], 2, v[17:18]
	s_delay_alu instid0(VALU_DEP_1) | instskip(NEXT) | instid1(VALU_DEP_2)
	v_add_co_u32 v17, vcc_lo, s48, v17
	v_add_co_ci_u32_e32 v18, vcc_lo, s49, v18, vcc_lo
	global_load_b32 v8, v[17:18], off
	s_waitcnt vmcnt(0)
	v_div_scale_f32 v17, null, v5, v5, v8
	s_delay_alu instid0(VALU_DEP_1) | instskip(SKIP_2) | instid1(VALU_DEP_1)
	v_rcp_f32_e32 v18, v17
	s_waitcnt_depctr 0xfff
	v_fma_f32 v19, -v17, v18, 1.0
	v_fmac_f32_e32 v18, v19, v18
	v_div_scale_f32 v19, vcc_lo, v8, v5, v8
	s_delay_alu instid0(VALU_DEP_1) | instskip(NEXT) | instid1(VALU_DEP_1)
	v_mul_f32_e32 v20, v19, v18
	v_fma_f32 v21, -v17, v20, v19
	s_delay_alu instid0(VALU_DEP_1) | instskip(NEXT) | instid1(VALU_DEP_1)
	v_fmac_f32_e32 v20, v21, v18
	v_fma_f32 v17, -v17, v20, v19
	s_delay_alu instid0(VALU_DEP_1) | instskip(NEXT) | instid1(VALU_DEP_1)
	v_div_fmas_f32 v17, v17, v18, v20
	v_div_fixup_f32 v8, v17, v5, v8
.LBB6_44:                               ;   in Loop: Header=BB6_42 Depth=2
	s_or_b32 exec_lo, exec_lo, s1
	s_delay_alu instid0(SALU_CYCLE_1)
	s_and_not1_b32 vcc_lo, exec_lo, s50
	ds_store_b32 v11, v8
	s_waitcnt lgkmcnt(0)
	s_barrier
	buffer_gl0_inv
	s_cbranch_vccnz .LBB6_51
; %bb.45:                               ;   in Loop: Header=BB6_42 Depth=2
	s_mov_b32 s1, 1
	s_branch .LBB6_47
	.p2align	6
.LBB6_46:                               ;   in Loop: Header=BB6_47 Depth=3
	s_or_b32 exec_lo, exec_lo, s7
	s_lshl_b32 s1, s1, 1
	s_waitcnt lgkmcnt(0)
	s_cmp_ge_u32 s1, s46
	s_barrier
	buffer_gl0_inv
	s_cbranch_scc1 .LBB6_51
.LBB6_47:                               ;   Parent Loop BB6_5 Depth=1
                                        ;     Parent Loop BB6_42 Depth=2
                                        ; =>    This Inner Loop Header: Depth=3
	v_cmp_le_u32_e32 vcc_lo, s1, v0
	v_mov_b32_e32 v17, 0
	s_and_saveexec_b32 s7, vcc_lo
	s_cbranch_execz .LBB6_49
; %bb.48:                               ;   in Loop: Header=BB6_47 Depth=3
	v_subrev_nc_u32_e32 v17, s1, v0
	s_delay_alu instid0(VALU_DEP_1)
	v_lshl_add_u32 v17, v17, 2, 8
	ds_load_b32 v17, v17
	ds_load_b32 v18, v11
	s_waitcnt lgkmcnt(0)
	v_add_f32_e32 v17, v17, v18
.LBB6_49:                               ;   in Loop: Header=BB6_47 Depth=3
	s_or_b32 exec_lo, exec_lo, s7
	s_barrier
	buffer_gl0_inv
	s_and_saveexec_b32 s7, vcc_lo
	s_cbranch_execz .LBB6_46
; %bb.50:                               ;   in Loop: Header=BB6_47 Depth=3
	ds_store_b32 v11, v17
	s_branch .LBB6_46
.LBB6_51:                               ;   in Loop: Header=BB6_42 Depth=2
	ds_load_b32 v17, v11
	v_mov_b32_e32 v18, v1
	s_and_saveexec_b32 s1, s4
	s_cbranch_execz .LBB6_53
; %bb.52:                               ;   in Loop: Header=BB6_42 Depth=2
	ds_load_b32 v18, v12
	s_waitcnt lgkmcnt(0)
	v_add_f32_e32 v18, v1, v18
.LBB6_53:                               ;   in Loop: Header=BB6_42 Depth=2
	s_or_b32 exec_lo, exec_lo, s1
	s_waitcnt lgkmcnt(0)
	v_add_f32_e32 v17, v1, v17
	s_delay_alu instid0(VALU_DEP_2) | instskip(SKIP_1) | instid1(VALU_DEP_3)
	v_cmp_ge_f32_e64 s1, v6, v18
	v_cmp_lt_f32_e64 s7, 0, v8
	v_cmp_nge_f32_e32 vcc_lo, v6, v17
	s_and_b32 s0, s0, vcc_lo
	s_delay_alu instid0(VALU_DEP_3) | instid1(SALU_CYCLE_1)
	s_and_b32 s0, s0, s1
	s_delay_alu instid0(VALU_DEP_2) | instid1(SALU_CYCLE_1)
	s_and_b32 s1, s0, s7
	s_delay_alu instid0(SALU_CYCLE_1)
	s_and_saveexec_b32 s0, s1
	s_cbranch_execz .LBB6_41
; %bb.54:                               ;   in Loop: Header=BB6_42 Depth=2
	s_mov_b32 s7, exec_lo
	s_mov_b32 s1, 0
.LBB6_55:                               ;   Parent Loop BB6_5 Depth=1
                                        ;     Parent Loop BB6_42 Depth=2
                                        ; =>    This Inner Loop Header: Depth=3
	s_ctz_i32_b32 s53, s7
	s_delay_alu instid0(SALU_CYCLE_1) | instskip(SKIP_1) | instid1(SALU_CYCLE_1)
	v_readlane_b32 s54, v7, s53
	s_lshl_b32 s53, 1, s53
	s_and_not1_b32 s7, s7, s53
	s_delay_alu instid0(VALU_DEP_1)
	s_max_u32 s1, s1, s54
	s_cmp_lg_u32 s7, 0
	s_cbranch_scc1 .LBB6_55
; %bb.56:                               ;   in Loop: Header=BB6_42 Depth=2
	v_mbcnt_lo_u32_b32 v7, exec_lo, 0
	s_mov_b32 s7, exec_lo
	s_delay_alu instid0(VALU_DEP_1)
	v_cmpx_eq_u32_e32 0, v7
	s_xor_b32 s7, exec_lo, s7
	s_cbranch_execz .LBB6_40
; %bb.57:                               ;   in Loop: Header=BB6_42 Depth=2
	v_mov_b32_e32 v7, s1
	ds_max_u32 v2, v7
	s_branch .LBB6_40
.LBB6_58:                               ;   in Loop: Header=BB6_5 Depth=1
	s_xor_b32 s1, s0, -1
	s_mov_b32 s7, 0
	s_mov_b32 s0, 0
	s_and_saveexec_b32 s46, s3
	s_cbranch_execz .LBB6_69
; %bb.59:                               ;   in Loop: Header=BB6_5 Depth=1
	s_and_b32 vcc_lo, exec_lo, s1
	s_cbranch_vccz .LBB6_66
; %bb.60:                               ;   in Loop: Header=BB6_5 Depth=1
	s_mul_i32 s0, s22, s25
	s_mul_hi_u32 s1, s22, s18
	s_mul_i32 s47, s23, s18
	s_add_i32 s1, s1, s0
	s_mul_i32 s0, s22, s18
	s_add_i32 s1, s1, s47
	s_mov_b32 s47, s24
	s_lshl_b64 s[48:49], s[0:1], 2
	s_mov_b32 s0, s27
	s_add_u32 s48, s14, s48
	s_addc_u32 s49, s15, s49
	s_branch .LBB6_62
	.p2align	6
.LBB6_61:                               ;   in Loop: Header=BB6_62 Depth=2
	s_ashr_i32 s1, s0, 31
	s_add_i32 s47, s47, -1
	s_lshl_b64 s[50:51], s[0:1], 2
	s_mov_b32 s1, 0
	s_add_u32 s50, s48, s50
	s_addc_u32 s51, s49, s51
	s_sub_i32 s0, s0, s19
	global_load_b32 v1, v2, s[50:51]
	s_waitcnt vmcnt(0)
	v_cmp_lt_f32_e64 s50, 0, v1
	s_delay_alu instid0(VALU_DEP_1)
	s_and_not1_b32 vcc_lo, exec_lo, s50
	s_cbranch_vccz .LBB6_64
.LBB6_62:                               ;   Parent Loop BB6_5 Depth=1
                                        ; =>  This Inner Loop Header: Depth=2
	s_cmp_lt_i32 s47, 1
	s_cbranch_scc0 .LBB6_61
; %bb.63:                               ;   in Loop: Header=BB6_5 Depth=1
	s_mov_b32 s1, -1
                                        ; implicit-def: $sgpr0
                                        ; implicit-def: $sgpr47
.LBB6_64:                               ;   in Loop: Header=BB6_5 Depth=1
	s_delay_alu instid0(SALU_CYCLE_1)
	s_xor_b32 s0, s1, -1
	v_mov_b32_e32 v1, s47
	s_branch .LBB6_68
.LBB6_65:                               ;   in Loop: Header=BB6_5 Depth=1
	s_mov_b32 s0, 0
	s_cbranch_execnz .LBB6_70
	s_branch .LBB6_71
.LBB6_66:                               ;   in Loop: Header=BB6_5 Depth=1
                                        ; implicit-def: $sgpr47
	v_mov_b32_e32 v1, s47
	s_cbranch_execz .LBB6_68
; %bb.67:                               ;   in Loop: Header=BB6_5 Depth=1
	ds_load_b32 v1, v2
	s_mov_b32 s0, -1
.LBB6_68:                               ;   in Loop: Header=BB6_5 Depth=1
	s_delay_alu instid0(SALU_CYCLE_1)
	s_and_b32 s0, s0, exec_lo
.LBB6_69:                               ;   in Loop: Header=BB6_5 Depth=1
	s_or_b32 exec_lo, exec_lo, s46
	s_delay_alu instid0(SALU_CYCLE_1)
	s_and_b32 vcc_lo, exec_lo, s7
	s_cbranch_vccz .LBB6_71
.LBB6_70:                               ;   in Loop: Header=BB6_5 Depth=1
	s_waitcnt lgkmcnt(0)
	v_mov_b32_e32 v1, 0
	s_and_not1_b32 s0, s0, exec_lo
	s_and_b32 s1, s3, exec_lo
	s_delay_alu instid0(SALU_CYCLE_1)
	s_or_b32 s0, s0, s1
.LBB6_71:                               ;   in Loop: Header=BB6_5 Depth=1
	s_delay_alu instid0(SALU_CYCLE_1)
	s_and_saveexec_b32 s1, s0
	s_cbranch_execz .LBB6_2
; %bb.72:                               ;   in Loop: Header=BB6_5 Depth=1
	s_lshl_b64 s[46:47], s[22:23], 3
	s_delay_alu instid0(SALU_CYCLE_1)
	s_add_u32 s46, s8, s46
	s_addc_u32 s47, s9, s47
	s_waitcnt lgkmcnt(0)
	global_store_b64 v2, v[1:2], s[46:47]
	s_branch .LBB6_2
.LBB6_73:
	s_or_b32 exec_lo, exec_lo, s17
	s_xor_b32 s3, s31, -1
	s_xor_b32 s5, s29, -1
	;; [unrolled: 1-line block ×4, first 2 shown]
	s_mov_b32 s1, 0
	s_and_saveexec_b32 s2, s0
	s_delay_alu instid0(SALU_CYCLE_1)
	s_xor_b32 s0, exec_lo, s2
	s_cbranch_execz .LBB6_85
; %bb.74:
	s_mov_b32 s2, 0
	s_and_saveexec_b32 s1, s4
	s_delay_alu instid0(SALU_CYCLE_1)
	s_xor_b32 s1, exec_lo, s1
	s_cbranch_execz .LBB6_83
; %bb.75:
	;; [unrolled: 6-line block ×3, first 2 shown]
	s_and_saveexec_b32 s5, s3
	s_delay_alu instid0(SALU_CYCLE_1)
	s_xor_b32 s3, exec_lo, s5
	s_cbranch_execz .LBB6_79
; %bb.77:
	s_and_saveexec_b32 s5, s16
	s_delay_alu instid0(SALU_CYCLE_1)
	s_xor_b32 s5, exec_lo, s5
	s_cbranch_execnz .LBB6_103
.LBB6_78:
	s_or_b32 exec_lo, exec_lo, s5
	s_delay_alu instid0(SALU_CYCLE_1)
	s_and_b32 s4, s4, exec_lo
.LBB6_79:
	s_and_not1_saveexec_b32 s3, s3
	s_cbranch_execnz .LBB6_99
.LBB6_80:
	s_or_b32 exec_lo, exec_lo, s3
	s_delay_alu instid0(SALU_CYCLE_1)
	s_and_b32 s4, s4, exec_lo
.LBB6_81:
	s_and_not1_saveexec_b32 s2, s2
	s_cbranch_execnz .LBB6_95
.LBB6_82:
	s_or_b32 exec_lo, exec_lo, s2
	s_delay_alu instid0(SALU_CYCLE_1)
	s_and_b32 s2, s4, exec_lo
.LBB6_83:
	s_and_not1_saveexec_b32 s1, s1
	s_cbranch_execnz .LBB6_91
.LBB6_84:
	s_or_b32 exec_lo, exec_lo, s1
	s_delay_alu instid0(SALU_CYCLE_1)
	s_and_b32 s1, s2, exec_lo
.LBB6_85:
	s_and_not1_saveexec_b32 s0, s0
	s_cbranch_execnz .LBB6_89
; %bb.86:
	s_or_b32 exec_lo, exec_lo, s0
	s_and_saveexec_b32 s0, s1
.LBB6_87:
	; divergent unreachable
.LBB6_88:
	s_nop 0
	s_sendmsg sendmsg(MSG_DEALLOC_VGPRS)
	s_endpgm
.LBB6_89:
	s_cbranch_execnz .LBB6_93
; %bb.90:
	s_or_b32 s1, s1, exec_lo
	s_or_b32 exec_lo, exec_lo, s0
	s_and_saveexec_b32 s0, s1
	s_cbranch_execnz .LBB6_87
	s_branch .LBB6_88
.LBB6_91:
	s_cbranch_execnz .LBB6_97
; %bb.92:
	s_or_b32 s2, s2, exec_lo
	s_branch .LBB6_84
.LBB6_93:
	s_trap 2
	s_sendmsg_rtn_b32 s0, sendmsg(MSG_RTN_GET_DOORBELL)
	s_mov_b32 ttmp2, m0
	s_waitcnt lgkmcnt(0)
	s_and_b32 s0, s0, 0x3ff
	s_delay_alu instid0(SALU_CYCLE_1) | instskip(NEXT) | instid1(SALU_CYCLE_1)
	s_bitset1_b32 s0, 10
	s_mov_b32 m0, s0
	s_sendmsg sendmsg(MSG_INTERRUPT)
	s_mov_b32 m0, ttmp2
.LBB6_94:                               ; =>This Inner Loop Header: Depth=1
	s_sethalt 5
	s_branch .LBB6_94
.LBB6_95:
	s_cbranch_execnz .LBB6_101
; %bb.96:
	s_or_b32 s4, s4, exec_lo
	s_branch .LBB6_82
.LBB6_97:
	s_trap 2
	s_sendmsg_rtn_b32 s0, sendmsg(MSG_RTN_GET_DOORBELL)
	s_mov_b32 ttmp2, m0
	s_waitcnt lgkmcnt(0)
	s_and_b32 s0, s0, 0x3ff
	s_delay_alu instid0(SALU_CYCLE_1) | instskip(NEXT) | instid1(SALU_CYCLE_1)
	s_bitset1_b32 s0, 10
	s_mov_b32 m0, s0
	s_sendmsg sendmsg(MSG_INTERRUPT)
	s_mov_b32 m0, ttmp2
.LBB6_98:                               ; =>This Inner Loop Header: Depth=1
	s_sethalt 5
	s_branch .LBB6_98
.LBB6_99:
	s_cbranch_execnz .LBB6_105
; %bb.100:
	s_or_b32 s4, s4, exec_lo
	s_branch .LBB6_80
.LBB6_101:
	s_trap 2
	s_sendmsg_rtn_b32 s0, sendmsg(MSG_RTN_GET_DOORBELL)
	s_mov_b32 ttmp2, m0
	s_waitcnt lgkmcnt(0)
	s_and_b32 s0, s0, 0x3ff
	s_delay_alu instid0(SALU_CYCLE_1) | instskip(NEXT) | instid1(SALU_CYCLE_1)
	s_bitset1_b32 s0, 10
	s_mov_b32 m0, s0
	s_sendmsg sendmsg(MSG_INTERRUPT)
	s_mov_b32 m0, ttmp2
.LBB6_102:                              ; =>This Inner Loop Header: Depth=1
	s_sethalt 5
	s_branch .LBB6_102
.LBB6_103:
	s_cbranch_execnz .LBB6_107
; %bb.104:
	s_mov_b32 s4, exec_lo
	s_branch .LBB6_78
.LBB6_105:
	s_trap 2
	s_sendmsg_rtn_b32 s0, sendmsg(MSG_RTN_GET_DOORBELL)
	s_mov_b32 ttmp2, m0
	s_waitcnt lgkmcnt(0)
	s_and_b32 s0, s0, 0x3ff
	s_delay_alu instid0(SALU_CYCLE_1) | instskip(NEXT) | instid1(SALU_CYCLE_1)
	s_bitset1_b32 s0, 10
	s_mov_b32 m0, s0
	s_sendmsg sendmsg(MSG_INTERRUPT)
	s_mov_b32 m0, ttmp2
.LBB6_106:                              ; =>This Inner Loop Header: Depth=1
	s_sethalt 5
	s_branch .LBB6_106
.LBB6_107:
	s_trap 2
	s_sendmsg_rtn_b32 s0, sendmsg(MSG_RTN_GET_DOORBELL)
	s_mov_b32 ttmp2, m0
	s_waitcnt lgkmcnt(0)
	s_and_b32 s0, s0, 0x3ff
	s_delay_alu instid0(SALU_CYCLE_1) | instskip(NEXT) | instid1(SALU_CYCLE_1)
	s_bitset1_b32 s0, 10
	s_mov_b32 m0, s0
	s_sendmsg sendmsg(MSG_INTERRUPT)
	s_mov_b32 m0, ttmp2
.LBB6_108:                              ; =>This Inner Loop Header: Depth=1
	s_sethalt 5
	s_branch .LBB6_108
	.section	.rodata,"a",@progbits
	.p2align	6, 0x0
	.amdhsa_kernel _ZN2at6native12_GLOBAL__N_121sampleMultinomialOnceIffEEvPlliPKT_S6_ii
		.amdhsa_group_segment_fixed_size 8
		.amdhsa_private_segment_fixed_size 0
		.amdhsa_kernarg_size 304
		.amdhsa_user_sgpr_count 15
		.amdhsa_user_sgpr_dispatch_ptr 0
		.amdhsa_user_sgpr_queue_ptr 0
		.amdhsa_user_sgpr_kernarg_segment_ptr 1
		.amdhsa_user_sgpr_dispatch_id 0
		.amdhsa_user_sgpr_private_segment_size 0
		.amdhsa_wavefront_size32 1
		.amdhsa_uses_dynamic_stack 0
		.amdhsa_enable_private_segment 0
		.amdhsa_system_sgpr_workgroup_id_x 1
		.amdhsa_system_sgpr_workgroup_id_y 0
		.amdhsa_system_sgpr_workgroup_id_z 0
		.amdhsa_system_sgpr_workgroup_info 0
		.amdhsa_system_vgpr_workitem_id 0
		.amdhsa_next_free_vgpr 22
		.amdhsa_next_free_sgpr 63
		.amdhsa_reserve_vcc 1
		.amdhsa_float_round_mode_32 0
		.amdhsa_float_round_mode_16_64 0
		.amdhsa_float_denorm_mode_32 3
		.amdhsa_float_denorm_mode_16_64 3
		.amdhsa_dx10_clamp 1
		.amdhsa_ieee_mode 1
		.amdhsa_fp16_overflow 0
		.amdhsa_workgroup_processor_mode 1
		.amdhsa_memory_ordered 1
		.amdhsa_forward_progress 0
		.amdhsa_shared_vgpr_count 0
		.amdhsa_exception_fp_ieee_invalid_op 0
		.amdhsa_exception_fp_denorm_src 0
		.amdhsa_exception_fp_ieee_div_zero 0
		.amdhsa_exception_fp_ieee_overflow 0
		.amdhsa_exception_fp_ieee_underflow 0
		.amdhsa_exception_fp_ieee_inexact 0
		.amdhsa_exception_int_div_zero 0
	.end_amdhsa_kernel
	.section	.text._ZN2at6native12_GLOBAL__N_121sampleMultinomialOnceIffEEvPlliPKT_S6_ii,"axG",@progbits,_ZN2at6native12_GLOBAL__N_121sampleMultinomialOnceIffEEvPlliPKT_S6_ii,comdat
.Lfunc_end6:
	.size	_ZN2at6native12_GLOBAL__N_121sampleMultinomialOnceIffEEvPlliPKT_S6_ii, .Lfunc_end6-_ZN2at6native12_GLOBAL__N_121sampleMultinomialOnceIffEEvPlliPKT_S6_ii
                                        ; -- End function
	.section	.AMDGPU.csdata,"",@progbits
; Kernel info:
; codeLenInByte = 3584
; NumSgprs: 65
; NumVgprs: 22
; ScratchSize: 0
; MemoryBound: 0
; FloatMode: 240
; IeeeMode: 1
; LDSByteSize: 8 bytes/workgroup (compile time only)
; SGPRBlocks: 8
; VGPRBlocks: 2
; NumSGPRsForWavesPerEU: 65
; NumVGPRsForWavesPerEU: 22
; Occupancy: 16
; WaveLimiterHint : 0
; COMPUTE_PGM_RSRC2:SCRATCH_EN: 0
; COMPUTE_PGM_RSRC2:USER_SGPR: 15
; COMPUTE_PGM_RSRC2:TRAP_HANDLER: 0
; COMPUTE_PGM_RSRC2:TGID_X_EN: 1
; COMPUTE_PGM_RSRC2:TGID_Y_EN: 0
; COMPUTE_PGM_RSRC2:TGID_Z_EN: 0
; COMPUTE_PGM_RSRC2:TIDIG_COMP_CNT: 0
	.section	.text._ZN2at6native12_GLOBAL__N_132sampleMultinomialWithReplacementIfEEvNS_15PhiloxCudaStateEiPlliPKT_S7_,"axG",@progbits,_ZN2at6native12_GLOBAL__N_132sampleMultinomialWithReplacementIfEEvNS_15PhiloxCudaStateEiPlliPKT_S7_,comdat
	.globl	_ZN2at6native12_GLOBAL__N_132sampleMultinomialWithReplacementIfEEvNS_15PhiloxCudaStateEiPlliPKT_S7_ ; -- Begin function _ZN2at6native12_GLOBAL__N_132sampleMultinomialWithReplacementIfEEvNS_15PhiloxCudaStateEiPlliPKT_S7_
	.p2align	8
	.type	_ZN2at6native12_GLOBAL__N_132sampleMultinomialWithReplacementIfEEvNS_15PhiloxCudaStateEiPlliPKT_S7_,@function
_ZN2at6native12_GLOBAL__N_132sampleMultinomialWithReplacementIfEEvNS_15PhiloxCudaStateEiPlliPKT_S7_: ; @_ZN2at6native12_GLOBAL__N_132sampleMultinomialWithReplacementIfEEvNS_15PhiloxCudaStateEiPlliPKT_S7_
; %bb.0:
	s_clause 0x1
	s_load_b128 s[4:7], s[0:1], 0x0
	s_load_b32 s3, s[0:1], 0x18
	s_mov_b32 s2, s15
	s_waitcnt lgkmcnt(0)
	v_dual_mov_b32 v12, s7 :: v_dual_mov_b32 v11, s6
	v_dual_mov_b32 v1, s4 :: v_dual_mov_b32 v2, s5
	s_bitcmp0_b32 s3, 0
	s_mov_b32 s3, 0
	s_cbranch_scc1 .LBB7_2
; %bb.1:
	v_dual_mov_b32 v1, s6 :: v_dual_mov_b32 v2, s7
	flat_load_b64 v[3:4], v[1:2]
	v_dual_mov_b32 v1, s4 :: v_dual_mov_b32 v2, s5
	s_load_b64 s[4:5], s[0:1], 0x10
	flat_load_b64 v[1:2], v[1:2]
	s_waitcnt vmcnt(1) lgkmcnt(0)
	v_add_co_u32 v11, vcc_lo, v3, s4
	v_add_co_ci_u32_e32 v12, vcc_lo, s5, v4, vcc_lo
.LBB7_2:
	s_load_b128 s[4:7], s[0:1], 0x28
	s_waitcnt lgkmcnt(0)
	v_cmp_ge_i64_e64 s8, s[2:3], s[6:7]
	s_delay_alu instid0(VALU_DEP_1)
	s_and_b32 vcc_lo, exec_lo, s8
	s_cbranch_vccnz .LBB7_36
; %bb.3:
	s_clause 0x2
	s_load_b32 s12, s[0:1], 0x38
	s_load_b32 s23, s[0:1], 0x50
	s_load_b32 s15, s[0:1], 0x5c
	v_alignbit_b32 v14, v12, v11, 2
	v_lshrrev_b32_e32 v18, 2, v12
	s_waitcnt vmcnt(0)
	v_mov_b32_e32 v31, v2
	v_add_co_u32 v15, null, 0x9e3779b9, v1
	v_mad_u64_u32 v[5:6], null, 0xd2511f53, v14, 0
	s_delay_alu instid0(VALU_DEP_3)
	v_add_co_u32 v16, null, 0xbb67ae85, v31
	v_add_co_u32 v19, null, 0x76cf5d0a, v31
	;; [unrolled: 1-line block ×5, first 2 shown]
	s_waitcnt lgkmcnt(0)
	s_ashr_i32 s13, s12, 31
	s_mul_i32 s18, s23, s2
	s_add_u32 s16, s0, 0x50
	s_addc_u32 s17, s1, 0
	s_add_i32 s18, s18, s14
	s_and_b32 s15, s15, 0xffff
	v_add_co_u32 v23, null, 0xed9eba14, v31
	v_mad_u64_u32 v[3:4], null, s18, s15, v[0:1]
	v_xor_b32_e32 v4, v6, v2
	v_add_co_u32 v24, null, 0x78dde6e4, v1
	v_add_co_u32 v25, null, 0x1715609d, v1
	;; [unrolled: 1-line block ×3, first 2 shown]
	v_mad_u64_u32 v[6:7], null, 0xcd9e8d57, v3, 0
	v_ashrrev_i32_e32 v17, 31, v3
	v_add_co_u32 v27, null, 0x646e171e, v31
	v_add_co_u32 v28, null, 0xb54cda56, v1
	s_delay_alu instid0(VALU_DEP_3) | instskip(SKIP_3) | instid1(VALU_DEP_4)
	v_xor_b32_e32 v4, v4, v17
	v_xor3_b32 v12, v1, v7, v18
	v_add_co_u32 v29, null, 0x5384540f, v1
	v_add_co_u32 v30, null, 0x1fd5c5a3, v31
	v_mad_u64_u32 v[7:8], null, 0xcd9e8d57, v4, 0
	s_delay_alu instid0(VALU_DEP_4) | instskip(SKIP_4) | instid1(VALU_DEP_3)
	v_mad_u64_u32 v[9:10], null, 0xd2511f53, v12, 0
	s_clause 0x1
	s_load_b128 s[8:11], s[0:1], 0x40
	s_load_b32 s18, s[0:1], 0x20
	v_add_co_u32 v31, null, 0xdb3d7428, v31
	v_xor3_b32 v6, v15, v8, v6
	v_add_co_u32 v32, null, 0xf1bbcdc8, v1
	s_delay_alu instid0(VALU_DEP_4) | instskip(SKIP_1) | instid1(VALU_DEP_4)
	v_xor3_b32 v8, v16, v10, v5
	v_add_nc_u32_e32 v33, 0x96a522ad, v2
	v_mad_u64_u32 v[4:5], null, 0xd2511f53, v6, 0
	v_cmp_gt_i64_e64 s20, s[12:13], 0
	s_delay_alu instid0(VALU_DEP_4) | instskip(SKIP_3) | instid1(VALU_DEP_4)
	v_mad_u64_u32 v[12:13], null, 0xcd9e8d57, v8, 0
	v_and_b32_e32 v34, 3, v11
	s_mov_b32 s19, 0
	s_add_i32 s21, s12, -1
	v_xor3_b32 v8, v19, v5, v9
	s_mul_i32 s23, s23, s15
                                        ; implicit-def: $sgpr24
                                        ; implicit-def: $sgpr25
	s_delay_alu instid0(VALU_DEP_3) | instskip(SKIP_3) | instid1(VALU_DEP_2)
	v_xor3_b32 v9, v20, v13, v7
	s_waitcnt lgkmcnt(0)
	s_ashr_i32 s22, s18, 31
	v_mad_u64_u32 v[5:6], null, 0xcd9e8d57, v8, 0
	v_mad_u64_u32 v[7:8], null, 0xd2511f53, v9, 0
	s_delay_alu instid0(VALU_DEP_2) | instskip(NEXT) | instid1(VALU_DEP_2)
	v_xor3_b32 v6, v21, v6, v12
	v_xor3_b32 v4, v22, v8, v4
	s_delay_alu instid0(VALU_DEP_2) | instskip(NEXT) | instid1(VALU_DEP_2)
	v_mad_u64_u32 v[8:9], null, 0xd2511f53, v6, 0
	v_mad_u64_u32 v[12:13], null, 0xcd9e8d57, v4, 0
	s_delay_alu instid0(VALU_DEP_2) | instskip(NEXT) | instid1(VALU_DEP_2)
	v_xor3_b32 v6, v23, v9, v7
	v_xor3_b32 v9, v24, v13, v5
	s_delay_alu instid0(VALU_DEP_2) | instskip(NEXT) | instid1(VALU_DEP_2)
	;; [unrolled: 6-line block ×5, first 2 shown]
	v_mad_u64_u32 v[35:36], null, 0xd2511f53, v5, 0
	v_mad_u64_u32 v[37:38], null, 0xcd9e8d57, v6, 0
	s_delay_alu instid0(VALU_DEP_2) | instskip(NEXT) | instid1(VALU_DEP_2)
	v_xor3_b32 v6, v31, v36, v12
	v_xor3_b32 v12, v32, v38, v4
	v_mad_u64_u32 v[4:5], null, s14, s15, v[0:1]
	s_delay_alu instid0(VALU_DEP_3) | instskip(NEXT) | instid1(VALU_DEP_3)
	v_mad_u64_u32 v[9:10], null, 0xcd9e8d57, v6, 0
	v_mad_u64_u32 v[7:8], null, 0xd2511f53, v12, 0
	v_add_nc_u32_e32 v0, 0x8ff34781, v1
	v_mov_b32_e32 v6, 0
	v_cmp_gt_i32_e64 s0, s18, v4
	s_lshl_b64 s[14:15], s[12:13], 2
	s_delay_alu instid0(VALU_DEP_3)
	v_xor3_b32 v10, v10, v37, v0
	v_xor3_b32 v8, v8, v35, v33
	s_branch .LBB7_5
.LBB7_4:                                ;   in Loop: Header=BB7_5 Depth=1
	s_or_b32 exec_lo, exec_lo, s27
	s_delay_alu instid0(SALU_CYCLE_1) | instskip(NEXT) | instid1(SALU_CYCLE_1)
	s_and_b32 s1, exec_lo, s26
	s_or_b32 s19, s1, s19
	s_and_not1_b32 s1, s24, exec_lo
	s_and_b32 s24, s25, exec_lo
	s_delay_alu instid0(SALU_CYCLE_1)
	s_or_b32 s24, s1, s24
	s_and_not1_b32 exec_lo, exec_lo, s19
	s_cbranch_execz .LBB7_35
.LBB7_5:                                ; =>This Loop Header: Depth=1
                                        ;     Child Loop BB7_9 Depth 2
                                        ;       Child Loop BB7_22 Depth 3
                                        ;       Child Loop BB7_28 Depth 3
	s_mov_b32 s1, -1
                                        ; implicit-def: $sgpr27
	s_and_saveexec_b32 s26, s0
	s_cbranch_execz .LBB7_33
; %bb.6:                                ;   in Loop: Header=BB7_5 Depth=1
	s_mul_i32 s1, s2, s13
	s_mul_hi_u32 s27, s2, s12
	s_mul_i32 s28, s2, s12
	s_add_i32 s1, s27, s1
	s_mul_i32 s27, s3, s12
	s_mul_hi_u32 s31, s2, s18
	s_add_i32 s29, s1, s27
	s_mul_i32 s1, s2, s22
	s_lshl_b64 s[28:29], s[28:29], 2
	s_mul_i32 s34, s2, s18
	s_add_u32 s27, s8, s28
	s_addc_u32 s28, s9, s29
	s_add_u32 s29, s27, s14
	s_addc_u32 s30, s28, s15
	s_add_i32 s1, s31, s1
	s_mul_i32 s31, s3, s18
	v_mov_b32_e32 v11, v4
	s_add_i32 s35, s1, s31
	s_mul_i32 s1, s14, s3
	s_lshl_b64 s[34:35], s[34:35], 3
                                        ; implicit-def: $sgpr37
                                        ; implicit-def: $sgpr38
	s_delay_alu instid0(SALU_CYCLE_1)
	s_add_u32 s31, s4, s34
	s_mul_hi_u32 s34, s14, s2
	s_addc_u32 s33, s5, s35
	s_add_i32 s1, s34, s1
	s_mul_i32 s34, s15, s2
	s_mov_b32 s35, 0
	s_add_i32 s1, s1, s34
	s_mul_i32 s34, s14, s2
	s_delay_alu instid0(SALU_CYCLE_1)
	s_add_u32 s34, s10, s34
	s_addc_u32 s36, s11, s1
	s_branch .LBB7_9
.LBB7_7:                                ;   in Loop: Header=BB7_9 Depth=2
	s_mov_b32 s1, -1
	s_mov_b32 s39, -1
                                        ; implicit-def: $vgpr11
                                        ; implicit-def: $vgpr10
                                        ; implicit-def: $vgpr9
                                        ; implicit-def: $vgpr8
                                        ; implicit-def: $vgpr7
                                        ; implicit-def: $vgpr14
                                        ; implicit-def: $vgpr18
                                        ; implicit-def: $vgpr3
                                        ; implicit-def: $vgpr17
.LBB7_8:                                ;   in Loop: Header=BB7_9 Depth=2
	s_delay_alu instid0(SALU_CYCLE_1) | instskip(SKIP_1) | instid1(SALU_CYCLE_1)
	s_xor_b32 s39, s39, -1
	s_and_b32 s40, exec_lo, s1
	s_or_b32 s35, s40, s35
	s_and_not1_b32 s38, s38, exec_lo
	s_and_b32 s1, s1, exec_lo
	s_and_not1_b32 s37, s37, exec_lo
	s_and_b32 s39, s39, exec_lo
	s_or_b32 s38, s38, s1
	s_or_b32 s37, s37, s39
	s_and_not1_b32 exec_lo, exec_lo, s35
	s_cbranch_execz .LBB7_32
.LBB7_9:                                ;   Parent Loop BB7_5 Depth=1
                                        ; =>  This Loop Header: Depth=2
                                        ;       Child Loop BB7_22 Depth 3
                                        ;       Child Loop BB7_28 Depth 3
	v_add_co_u32 v14, vcc_lo, v14, 1
	s_delay_alu instid0(VALU_DEP_1) | instskip(SKIP_2) | instid1(VALU_DEP_1)
	v_cndmask_b32_e64 v5, 0, 1, vcc_lo
	v_add_co_ci_u32_e32 v18, vcc_lo, 0, v18, vcc_lo
	s_mov_b32 s39, exec_lo
	v_cmp_eq_u32_e32 vcc_lo, 0, v18
	s_delay_alu instid0(VALU_DEP_3) | instskip(NEXT) | instid1(VALU_DEP_1)
	v_cndmask_b32_e32 v12, 0, v5, vcc_lo
	v_add_nc_u32_e32 v3, v12, v3
	s_delay_alu instid0(VALU_DEP_1)
	v_cmp_eq_u32_e64 s1, 0, v3
	v_cmpx_lt_i32_e32 1, v34
	s_xor_b32 s39, exec_lo, s39
	s_cbranch_execz .LBB7_15
; %bb.10:                               ;   in Loop: Header=BB7_9 Depth=2
	s_mov_b32 s40, exec_lo
	v_cmpx_lt_i32_e32 2, v34
	s_xor_b32 s40, exec_lo, s40
; %bb.11:                               ;   in Loop: Header=BB7_9 Depth=2
                                        ; implicit-def: $vgpr8
; %bb.12:                               ;   in Loop: Header=BB7_9 Depth=2
	s_delay_alu instid0(SALU_CYCLE_1)
	s_and_not1_saveexec_b32 s40, s40
; %bb.13:                               ;   in Loop: Header=BB7_9 Depth=2
	v_mov_b32_e32 v7, v8
; %bb.14:                               ;   in Loop: Header=BB7_9 Depth=2
	s_or_b32 exec_lo, exec_lo, s40
                                        ; implicit-def: $vgpr10
                                        ; implicit-def: $vgpr9
.LBB7_15:                               ;   in Loop: Header=BB7_9 Depth=2
	s_and_not1_saveexec_b32 s39, s39
	s_cbranch_execz .LBB7_19
; %bb.16:                               ;   in Loop: Header=BB7_9 Depth=2
	s_mov_b32 s40, exec_lo
	v_cmpx_eq_u32_e32 1, v34
; %bb.17:                               ;   in Loop: Header=BB7_9 Depth=2
	v_mov_b32_e32 v10, v9
; %bb.18:                               ;   in Loop: Header=BB7_9 Depth=2
	s_or_b32 exec_lo, exec_lo, s40
	s_delay_alu instid0(VALU_DEP_1)
	v_mov_b32_e32 v7, v10
.LBB7_19:                               ;   in Loop: Header=BB7_9 Depth=2
	s_or_b32 exec_lo, exec_lo, s39
	s_add_u32 s40, s29, -4
	s_addc_u32 s41, s30, -1
	s_load_b32 s39, s[40:41], 0x0
	s_waitcnt lgkmcnt(0)
	v_cmp_ngt_f32_e64 s39, s39, 0
	s_delay_alu instid0(VALU_DEP_1)
	s_and_b32 vcc_lo, exec_lo, s39
	s_cbranch_vccnz .LBB7_7
; %bb.20:                               ;   in Loop: Header=BB7_9 Depth=2
	s_and_not1_b32 vcc_lo, exec_lo, s20
	s_cbranch_vccnz .LBB7_24
; %bb.21:                               ;   in Loop: Header=BB7_9 Depth=2
	v_cvt_f32_u32_e32 v7, v7
	v_dual_mov_b32 v5, s12 :: v_dual_mov_b32 v8, s12
	v_mov_b32_e32 v13, 0
	s_mov_b32 s39, 0
	s_delay_alu instid0(VALU_DEP_3)
	v_fmaak_f32 v7, 0x2f800000, v7, 0x2f800000
	.p2align	6
.LBB7_22:                               ;   Parent Loop BB7_5 Depth=1
                                        ;     Parent Loop BB7_9 Depth=2
                                        ; =>    This Inner Loop Header: Depth=3
	s_delay_alu instid0(VALU_DEP_3) | instskip(NEXT) | instid1(VALU_DEP_1)
	v_lshrrev_b32_e32 v5, 1, v5
	v_add_nc_u32_e32 v5, v5, v13
	s_delay_alu instid0(VALU_DEP_1) | instskip(NEXT) | instid1(VALU_DEP_1)
	v_lshlrev_b64 v[9:10], 2, v[5:6]
	v_add_co_u32 v9, vcc_lo, s27, v9
	s_delay_alu instid0(VALU_DEP_2)
	v_add_co_ci_u32_e32 v10, vcc_lo, s28, v10, vcc_lo
	global_load_b32 v9, v[9:10], off
	v_add_nc_u32_e32 v10, 1, v5
	s_waitcnt vmcnt(0)
	v_cmp_lt_f32_e32 vcc_lo, v9, v7
	v_cndmask_b32_e32 v8, v5, v8, vcc_lo
	s_delay_alu instid0(VALU_DEP_3) | instskip(NEXT) | instid1(VALU_DEP_1)
	v_cndmask_b32_e32 v13, v13, v10, vcc_lo
	v_sub_nc_u32_e32 v5, v8, v13
	s_delay_alu instid0(VALU_DEP_1) | instskip(SKIP_1) | instid1(SALU_CYCLE_1)
	v_cmp_gt_i32_e32 vcc_lo, 1, v5
	s_or_b32 s39, vcc_lo, s39
	s_and_not1_b32 exec_lo, exec_lo, s39
	s_cbranch_execnz .LBB7_22
; %bb.23:                               ;   in Loop: Header=BB7_9 Depth=2
	s_or_b32 exec_lo, exec_lo, s39
	s_branch .LBB7_25
.LBB7_24:                               ;   in Loop: Header=BB7_9 Depth=2
	v_mov_b32_e32 v13, 0
.LBB7_25:                               ;   in Loop: Header=BB7_9 Depth=2
	v_mad_u64_u32 v[7:8], null, 0xd2511f53, v14, 0
	v_cndmask_b32_e64 v5, 0, v12, s1
	v_mad_u64_u32 v[9:10], null, 0xcd9e8d57, v3, 0
	s_delay_alu instid0(VALU_DEP_4) | instskip(SKIP_1) | instid1(VALU_DEP_3)
	v_cmp_eq_u32_e32 vcc_lo, s12, v13
	s_mov_b32 s39, exec_lo
	v_add_nc_u32_e32 v17, v5, v17
	v_xor_b32_e32 v5, v8, v2
	s_delay_alu instid0(VALU_DEP_4) | instskip(NEXT) | instid1(VALU_DEP_2)
	v_xor3_b32 v8, v10, v1, v18
	v_xor_b32_e32 v5, v17, v5
	s_delay_alu instid0(VALU_DEP_2) | instskip(NEXT) | instid1(VALU_DEP_2)
	v_mad_u64_u32 v[37:38], null, 0xd2511f53, v8, 0
	v_mad_u64_u32 v[35:36], null, 0xcd9e8d57, v5, 0
	s_delay_alu instid0(VALU_DEP_2) | instskip(NEXT) | instid1(VALU_DEP_2)
	v_xor3_b32 v12, v16, v38, v7
	v_xor3_b32 v5, v15, v36, v9
	s_delay_alu instid0(VALU_DEP_2) | instskip(NEXT) | instid1(VALU_DEP_2)
	v_mad_u64_u32 v[9:10], null, 0xcd9e8d57, v12, 0
	v_mad_u64_u32 v[7:8], null, 0xd2511f53, v5, 0
	s_delay_alu instid0(VALU_DEP_1) | instskip(NEXT) | instid1(VALU_DEP_3)
	v_xor3_b32 v5, v19, v8, v37
	v_xor3_b32 v8, v20, v10, v35
	s_delay_alu instid0(VALU_DEP_2) | instskip(NEXT) | instid1(VALU_DEP_2)
	v_mad_u64_u32 v[35:36], null, 0xcd9e8d57, v5, 0
	v_mad_u64_u32 v[37:38], null, 0xd2511f53, v8, 0
	s_delay_alu instid0(VALU_DEP_2) | instskip(NEXT) | instid1(VALU_DEP_2)
	v_xor3_b32 v5, v21, v36, v9
	v_xor3_b32 v12, v22, v38, v7
	s_delay_alu instid0(VALU_DEP_2) | instskip(NEXT) | instid1(VALU_DEP_2)
	v_mad_u64_u32 v[7:8], null, 0xd2511f53, v5, 0
	v_mad_u64_u32 v[9:10], null, 0xcd9e8d57, v12, 0
	s_delay_alu instid0(VALU_DEP_2) | instskip(NEXT) | instid1(VALU_DEP_2)
	;; [unrolled: 6-line block ×6, first 2 shown]
	v_xor3_b32 v5, v31, v39, v37
	v_xor3_b32 v12, v32, v41, v35
	s_delay_alu instid0(VALU_DEP_2) | instskip(NEXT) | instid1(VALU_DEP_2)
	v_mad_u64_u32 v[9:10], null, 0xcd9e8d57, v5, 0
	v_mad_u64_u32 v[7:8], null, 0xd2511f53, v12, 0
	v_cndmask_b32_e64 v5, v13, s21, vcc_lo
	s_delay_alu instid0(VALU_DEP_3) | instskip(NEXT) | instid1(VALU_DEP_3)
	v_xor3_b32 v10, v10, v40, v0
	v_xor3_b32 v8, v8, v38, v33
	s_delay_alu instid0(VALU_DEP_3)
	v_cmpx_lt_i32_e32 0, v5
	s_cbranch_execz .LBB7_31
; %bb.26:                               ;   in Loop: Header=BB7_9 Depth=2
	v_lshlrev_b64 v[12:13], 2, v[5:6]
	s_mov_b32 s40, 0
                                        ; implicit-def: $sgpr41
	s_delay_alu instid0(VALU_DEP_1) | instskip(NEXT) | instid1(VALU_DEP_2)
	v_add_co_u32 v12, vcc_lo, s34, v12
	v_add_co_ci_u32_e32 v13, vcc_lo, s36, v13, vcc_lo
	s_branch .LBB7_28
	.p2align	6
.LBB7_27:                               ;   in Loop: Header=BB7_28 Depth=3
	s_or_b32 exec_lo, exec_lo, s42
	v_dual_mov_b32 v36, v5 :: v_dual_mov_b32 v5, v35
	s_and_b32 s1, exec_lo, s41
	s_delay_alu instid0(SALU_CYCLE_1) | instskip(NEXT) | instid1(SALU_CYCLE_1)
	s_or_b32 s40, s1, s40
	s_and_not1_b32 exec_lo, exec_lo, s40
	s_cbranch_execz .LBB7_30
.LBB7_28:                               ;   Parent Loop BB7_5 Depth=1
                                        ;     Parent Loop BB7_9 Depth=2
                                        ; =>    This Inner Loop Header: Depth=3
	global_load_b32 v35, v[12:13], off
	s_or_b32 s41, s41, exec_lo
	s_waitcnt vmcnt(0)
	v_cmp_eq_f32_e32 vcc_lo, 0, v35
                                        ; implicit-def: $vgpr35
	s_and_saveexec_b32 s42, vcc_lo
	s_cbranch_execz .LBB7_27
; %bb.29:                               ;   in Loop: Header=BB7_28 Depth=3
	v_cmp_gt_u32_e32 vcc_lo, 2, v5
	v_add_co_u32 v12, s1, v12, -4
	v_add_nc_u32_e32 v35, -1, v5
	v_add_co_ci_u32_e64 v13, s1, -1, v13, s1
	v_mov_b32_e32 v5, 0
	s_and_not1_b32 s1, s41, exec_lo
	s_and_b32 s41, vcc_lo, exec_lo
	s_delay_alu instid0(SALU_CYCLE_1)
	s_or_b32 s41, s1, s41
	s_branch .LBB7_27
.LBB7_30:                               ;   in Loop: Header=BB7_9 Depth=2
	s_or_b32 exec_lo, exec_lo, s40
	v_mov_b32_e32 v5, v36
.LBB7_31:                               ;   in Loop: Header=BB7_9 Depth=2
	s_or_b32 exec_lo, exec_lo, s39
	v_ashrrev_i32_e32 v12, 31, v11
	s_delay_alu instid0(VALU_DEP_2) | instskip(SKIP_2) | instid1(VALU_DEP_3)
	v_ashrrev_i32_e32 v36, 31, v5
	v_mov_b32_e32 v35, v5
	s_mov_b32 s39, 0
	v_lshlrev_b64 v[12:13], 3, v[11:12]
	v_add_nc_u32_e32 v11, s23, v11
	s_delay_alu instid0(VALU_DEP_1) | instskip(NEXT) | instid1(VALU_DEP_3)
	v_cmp_le_i32_e64 s1, s18, v11
	v_add_co_u32 v12, vcc_lo, s31, v12
	s_delay_alu instid0(VALU_DEP_4)
	v_add_co_ci_u32_e32 v13, vcc_lo, s33, v13, vcc_lo
	global_store_b64 v[12:13], v[35:36], off
	s_branch .LBB7_8
.LBB7_32:                               ;   in Loop: Header=BB7_5 Depth=1
	s_or_b32 exec_lo, exec_lo, s35
	s_delay_alu instid0(SALU_CYCLE_1)
	s_and_b32 s27, s38, exec_lo
	s_or_not1_b32 s1, s37, exec_lo
.LBB7_33:                               ;   in Loop: Header=BB7_5 Depth=1
	s_or_b32 exec_lo, exec_lo, s26
	s_delay_alu instid0(SALU_CYCLE_1)
	s_and_not1_b32 s25, s25, exec_lo
	s_and_b32 s27, s27, exec_lo
	s_mov_b32 s26, -1
	s_or_b32 s25, s25, s27
	s_and_saveexec_b32 s27, s1
	s_cbranch_execz .LBB7_4
; %bb.34:                               ;   in Loop: Header=BB7_5 Depth=1
	s_load_b32 s1, s[16:17], 0x4
	s_waitcnt lgkmcnt(0)
	s_add_u32 s2, s2, s1
	s_addc_u32 s3, s3, 0
	s_and_not1_b32 s25, s25, exec_lo
	v_cmp_ge_i64_e64 s1, s[2:3], s[6:7]
	s_delay_alu instid0(VALU_DEP_1)
	s_or_not1_b32 s26, s1, exec_lo
	s_branch .LBB7_4
.LBB7_35:
	s_or_b32 exec_lo, exec_lo, s19
	s_and_saveexec_b32 s0, s24
	s_delay_alu instid0(SALU_CYCLE_1)
	s_xor_b32 s0, exec_lo, s0
	s_cbranch_execnz .LBB7_37
.LBB7_36:
	s_nop 0
	s_sendmsg sendmsg(MSG_DEALLOC_VGPRS)
	s_endpgm
.LBB7_37:
	s_cbranch_execnz .LBB7_39
; %bb.38:
	; divergent unreachable
	s_nop 0
	s_sendmsg sendmsg(MSG_DEALLOC_VGPRS)
	s_endpgm
.LBB7_39:
	s_trap 2
	s_sendmsg_rtn_b32 s0, sendmsg(MSG_RTN_GET_DOORBELL)
	s_mov_b32 ttmp2, m0
	s_waitcnt lgkmcnt(0)
	s_and_b32 s0, s0, 0x3ff
	s_delay_alu instid0(SALU_CYCLE_1) | instskip(NEXT) | instid1(SALU_CYCLE_1)
	s_bitset1_b32 s0, 10
	s_mov_b32 m0, s0
	s_sendmsg sendmsg(MSG_INTERRUPT)
	s_mov_b32 m0, ttmp2
.LBB7_40:                               ; =>This Inner Loop Header: Depth=1
	s_sethalt 5
	s_branch .LBB7_40
	.section	.rodata,"a",@progbits
	.p2align	6, 0x0
	.amdhsa_kernel _ZN2at6native12_GLOBAL__N_132sampleMultinomialWithReplacementIfEEvNS_15PhiloxCudaStateEiPlliPKT_S7_
		.amdhsa_group_segment_fixed_size 0
		.amdhsa_private_segment_fixed_size 0
		.amdhsa_kernarg_size 336
		.amdhsa_user_sgpr_count 14
		.amdhsa_user_sgpr_dispatch_ptr 0
		.amdhsa_user_sgpr_queue_ptr 0
		.amdhsa_user_sgpr_kernarg_segment_ptr 1
		.amdhsa_user_sgpr_dispatch_id 0
		.amdhsa_user_sgpr_private_segment_size 0
		.amdhsa_wavefront_size32 1
		.amdhsa_uses_dynamic_stack 0
		.amdhsa_enable_private_segment 0
		.amdhsa_system_sgpr_workgroup_id_x 1
		.amdhsa_system_sgpr_workgroup_id_y 1
		.amdhsa_system_sgpr_workgroup_id_z 0
		.amdhsa_system_sgpr_workgroup_info 0
		.amdhsa_system_vgpr_workitem_id 0
		.amdhsa_next_free_vgpr 42
		.amdhsa_next_free_sgpr 43
		.amdhsa_reserve_vcc 1
		.amdhsa_float_round_mode_32 0
		.amdhsa_float_round_mode_16_64 0
		.amdhsa_float_denorm_mode_32 3
		.amdhsa_float_denorm_mode_16_64 3
		.amdhsa_dx10_clamp 1
		.amdhsa_ieee_mode 1
		.amdhsa_fp16_overflow 0
		.amdhsa_workgroup_processor_mode 1
		.amdhsa_memory_ordered 1
		.amdhsa_forward_progress 0
		.amdhsa_shared_vgpr_count 0
		.amdhsa_exception_fp_ieee_invalid_op 0
		.amdhsa_exception_fp_denorm_src 0
		.amdhsa_exception_fp_ieee_div_zero 0
		.amdhsa_exception_fp_ieee_overflow 0
		.amdhsa_exception_fp_ieee_underflow 0
		.amdhsa_exception_fp_ieee_inexact 0
		.amdhsa_exception_int_div_zero 0
	.end_amdhsa_kernel
	.section	.text._ZN2at6native12_GLOBAL__N_132sampleMultinomialWithReplacementIfEEvNS_15PhiloxCudaStateEiPlliPKT_S7_,"axG",@progbits,_ZN2at6native12_GLOBAL__N_132sampleMultinomialWithReplacementIfEEvNS_15PhiloxCudaStateEiPlliPKT_S7_,comdat
.Lfunc_end7:
	.size	_ZN2at6native12_GLOBAL__N_132sampleMultinomialWithReplacementIfEEvNS_15PhiloxCudaStateEiPlliPKT_S7_, .Lfunc_end7-_ZN2at6native12_GLOBAL__N_132sampleMultinomialWithReplacementIfEEvNS_15PhiloxCudaStateEiPlliPKT_S7_
                                        ; -- End function
	.section	.AMDGPU.csdata,"",@progbits
; Kernel info:
; codeLenInByte = 2500
; NumSgprs: 45
; NumVgprs: 42
; ScratchSize: 0
; MemoryBound: 0
; FloatMode: 240
; IeeeMode: 1
; LDSByteSize: 0 bytes/workgroup (compile time only)
; SGPRBlocks: 5
; VGPRBlocks: 5
; NumSGPRsForWavesPerEU: 45
; NumVGPRsForWavesPerEU: 42
; Occupancy: 16
; WaveLimiterHint : 0
; COMPUTE_PGM_RSRC2:SCRATCH_EN: 0
; COMPUTE_PGM_RSRC2:USER_SGPR: 14
; COMPUTE_PGM_RSRC2:TRAP_HANDLER: 0
; COMPUTE_PGM_RSRC2:TGID_X_EN: 1
; COMPUTE_PGM_RSRC2:TGID_Y_EN: 1
; COMPUTE_PGM_RSRC2:TGID_Z_EN: 0
; COMPUTE_PGM_RSRC2:TIDIG_COMP_CNT: 0
	.section	.text._ZN2at6native12_GLOBAL__N_121sampleMultinomialOnceIN3c104HalfEfEEvPlliPKT_S8_ii,"axG",@progbits,_ZN2at6native12_GLOBAL__N_121sampleMultinomialOnceIN3c104HalfEfEEvPlliPKT_S8_ii,comdat
	.globl	_ZN2at6native12_GLOBAL__N_121sampleMultinomialOnceIN3c104HalfEfEEvPlliPKT_S8_ii ; -- Begin function _ZN2at6native12_GLOBAL__N_121sampleMultinomialOnceIN3c104HalfEfEEvPlliPKT_S8_ii
	.p2align	8
	.type	_ZN2at6native12_GLOBAL__N_121sampleMultinomialOnceIN3c104HalfEfEEvPlliPKT_S8_ii,@function
_ZN2at6native12_GLOBAL__N_121sampleMultinomialOnceIN3c104HalfEfEEvPlliPKT_S8_ii: ; @_ZN2at6native12_GLOBAL__N_121sampleMultinomialOnceIN3c104HalfEfEEvPlliPKT_S8_ii
; %bb.0:
	s_load_b128 s[8:11], s[0:1], 0x0
	s_mov_b32 s16, s15
	s_mov_b32 s17, 0
	s_waitcnt lgkmcnt(0)
	v_cmp_ge_i64_e64 s2, s[16:17], s[10:11]
	s_delay_alu instid0(VALU_DEP_1)
	s_and_b32 vcc_lo, exec_lo, s2
	s_cbranch_vccnz .LBB8_89
; %bb.1:
	s_clause 0x2
	s_load_b64 s[18:19], s[0:1], 0x28
	s_load_b32 s7, s[0:1], 0x10
	s_load_b128 s[12:15], s[0:1], 0x18
	v_lshrrev_b32_e32 v4, 3, v0
	v_dual_mov_b32 v2, 0 :: v_dual_and_b32 v1, 31, v0
	v_dual_mov_b32 v14, 1 :: v_dual_lshlrev_b32 v5, 2, v0
	s_delay_alu instid0(VALU_DEP_3)
	v_add_nc_u32_e32 v12, 8, v4
	v_cmp_gt_u32_e64 s2, 32, v0
	v_cmp_eq_u32_e64 s3, 0, v0
	v_cmp_ne_u32_e64 s4, 0, v0
	v_mbcnt_lo_u32_b32 v8, -1, 0
	v_cmp_eq_u32_e64 s5, 0, v1
	v_lshl_add_u32 v9, v1, 2, 8
	v_dual_mov_b32 v13, 8 :: v_dual_add_nc_u32 v10, 8, v5
	v_add3_u32 v11, 8, -4, v5
	s_mov_b64 s[22:23], s[16:17]
                                        ; implicit-def: $sgpr27
                                        ; implicit-def: $sgpr29
                                        ; implicit-def: $sgpr28
                                        ; implicit-def: $sgpr30
                                        ; implicit-def: $sgpr16
                                        ; implicit-def: $sgpr31
                                        ; implicit-def: $sgpr35
                                        ; implicit-def: $sgpr33
                                        ; implicit-def: $sgpr36
                                        ; implicit-def: $sgpr34
                                        ; implicit-def: $vgpr15
	s_waitcnt lgkmcnt(0)
	v_mul_lo_u32 v3, v0, s19
	s_ashr_i32 s24, s18, 31
	v_cmp_gt_i32_e64 s6, s7, v0
	s_add_u32 s20, s0, 48
	s_addc_u32 s21, s1, 0
	s_add_i32 s25, s7, -1
	s_delay_alu instid0(SALU_CYCLE_1) | instskip(NEXT) | instid1(VALU_DEP_2)
	s_mul_i32 s26, s19, s25
	v_ashrrev_i32_e32 v4, 31, v3
	s_delay_alu instid0(VALU_DEP_1)
	v_lshlrev_b64 v[3:4], 1, v[3:4]
	s_branch .LBB8_5
.LBB8_2:                                ;   in Loop: Header=BB8_5 Depth=1
	s_or_b32 exec_lo, exec_lo, s1
	s_add_u32 s22, s22, s38
	s_addc_u32 s23, s23, 0
	s_and_not1_b32 s41, s41, exec_lo
	v_cmp_ge_i64_e64 s0, s[22:23], s[10:11]
	s_and_not1_b32 s40, s40, exec_lo
	s_and_not1_b32 s39, s39, exec_lo
	;; [unrolled: 1-line block ×4, first 2 shown]
	s_delay_alu instid0(VALU_DEP_1)
	s_or_not1_b32 s1, s0, exec_lo
.LBB8_3:                                ;   in Loop: Header=BB8_5 Depth=1
	s_or_b32 exec_lo, exec_lo, s44
	s_delay_alu instid0(SALU_CYCLE_1)
	s_and_not1_b32 s0, s34, exec_lo
	s_and_b32 s34, s41, exec_lo
	s_and_not1_b32 s33, s33, exec_lo
	s_or_b32 s34, s0, s34
	s_and_not1_b32 s0, s36, exec_lo
	s_and_b32 s36, s40, exec_lo
	s_and_b32 s38, s39, exec_lo
	s_or_b32 s36, s0, s36
	s_or_b32 s33, s33, s38
	s_and_not1_b32 s0, s35, exec_lo
	s_and_b32 s35, s43, exec_lo
	s_and_not1_b32 s31, s31, exec_lo
	s_and_b32 s38, s42, exec_lo
	s_or_b32 s35, s0, s35
	s_or_b32 s31, s31, s38
	s_or_not1_b32 s0, s1, exec_lo
.LBB8_4:                                ;   in Loop: Header=BB8_5 Depth=1
	s_or_b32 exec_lo, exec_lo, s37
	s_delay_alu instid0(SALU_CYCLE_1) | instskip(NEXT) | instid1(SALU_CYCLE_1)
	s_and_b32 s0, exec_lo, s0
	s_or_b32 s17, s0, s17
	s_and_not1_b32 s0, s16, exec_lo
	s_and_b32 s1, s34, exec_lo
	s_and_not1_b32 s30, s30, exec_lo
	s_or_b32 s16, s0, s1
	s_and_b32 s0, s36, exec_lo
	s_and_not1_b32 s1, s28, exec_lo
	s_and_b32 s28, s33, exec_lo
	s_or_b32 s30, s30, s0
	s_or_b32 s28, s1, s28
	s_and_not1_b32 s0, s29, exec_lo
	s_and_b32 s1, s35, exec_lo
	s_and_not1_b32 s27, s27, exec_lo
	s_and_b32 s37, s31, exec_lo
	s_or_b32 s29, s0, s1
	s_or_b32 s27, s27, s37
	s_and_not1_b32 exec_lo, exec_lo, s17
	s_cbranch_execz .LBB8_74
.LBB8_5:                                ; =>This Loop Header: Depth=1
                                        ;     Child Loop BB8_14 Depth 2
                                        ;     Child Loop BB8_42 Depth 2
                                        ;       Child Loop BB8_47 Depth 3
                                        ;       Child Loop BB8_56 Depth 3
                                        ;     Child Loop BB8_63 Depth 2
	s_waitcnt lgkmcnt(0)
	v_mov_b32_e32 v1, 0
	s_mov_b32 s1, -1
                                        ; implicit-def: $sgpr37
                                        ; implicit-def: $sgpr38
                                        ; implicit-def: $sgpr39
                                        ; implicit-def: $sgpr41
	s_and_saveexec_b32 s0, s6
	s_cbranch_execz .LBB8_23
; %bb.6:                                ;   in Loop: Header=BB8_5 Depth=1
	s_mul_i32 s1, s22, s24
	s_mul_hi_u32 s37, s22, s18
	s_mul_i32 s38, s22, s18
	s_add_i32 s1, s37, s1
	s_mul_i32 s37, s23, s18
	v_mov_b32_e32 v1, 0
	s_add_i32 s39, s1, s37
	s_mov_b32 s37, -1
	s_lshl_b64 s[38:39], s[38:39], 1
	s_mov_b32 s40, 0
	s_add_u32 s38, s14, s38
	s_addc_u32 s39, s15, s39
	v_add_co_u32 v5, vcc_lo, s38, v3
	v_add_co_ci_u32_e32 v6, vcc_lo, s39, v4, vcc_lo
	s_mov_b32 s42, 0
	s_mov_b32 s44, 0
	;; [unrolled: 1-line block ×3, first 2 shown]
	global_load_u16 v15, v[5:6], off
	s_mov_b32 s1, exec_lo
	s_waitcnt vmcnt(0)
	v_cmpx_o_f16_e32 v15, v15
	s_cbranch_execz .LBB8_22
; %bb.7:                                ;   in Loop: Header=BB8_5 Depth=1
	v_mov_b32_e32 v1, 0
	s_mov_b32 s40, -1
	s_mov_b32 s41, 0
	s_mov_b32 s43, 0
	;; [unrolled: 1-line block ×4, first 2 shown]
	s_mov_b32 s37, exec_lo
	v_cmpx_neq_f16_e64 0x7c00, |v15|
	s_cbranch_execz .LBB8_21
; %bb.8:                                ;   in Loop: Header=BB8_5 Depth=1
	v_mov_b32_e32 v1, 0
	s_mov_b32 s41, -1
	s_mov_b32 s40, exec_lo
	v_cmpx_ngt_f16_e32 0, v15
	s_cbranch_execz .LBB8_20
; %bb.9:                                ;   in Loop: Header=BB8_5 Depth=1
	s_load_b32 s41, s[20:21], 0xc
	v_cvt_f32_f16_e32 v1, v15
	s_mov_b32 s43, -1
	s_mov_b32 s47, -1
	s_mov_b32 s49, 0
	s_delay_alu instid0(VALU_DEP_1) | instskip(SKIP_4) | instid1(VALU_DEP_1)
	v_add_f32_e32 v1, 0, v1
	s_waitcnt lgkmcnt(0)
	s_and_b32 s42, s41, 0xffff
	s_mov_b32 s41, exec_lo
	v_add_nc_u32_e32 v7, s42, v0
	v_cmpx_gt_i32_e64 s7, v7
	s_cbranch_execz .LBB8_19
; %bb.10:                               ;   in Loop: Header=BB8_5 Depth=1
	v_mul_lo_u32 v5, s19, v7
	s_mul_i32 s45, s19, s42
                                        ; implicit-def: $sgpr43
                                        ; implicit-def: $sgpr49
                                        ; implicit-def: $sgpr47
                                        ; implicit-def: $sgpr48
                                        ; implicit-def: $sgpr46
                                        ; implicit-def: $sgpr50
                                        ; implicit-def: $sgpr52
                                        ; implicit-def: $sgpr51
                                        ; implicit-def: $sgpr54
                                        ; implicit-def: $sgpr53
                                        ; implicit-def: $sgpr55
	s_branch .LBB8_14
.LBB8_11:                               ;   in Loop: Header=BB8_14 Depth=2
	s_or_b32 exec_lo, exec_lo, s59
	s_delay_alu instid0(SALU_CYCLE_1)
	s_mov_b32 s59, exec_lo
	s_or_not1_b32 s62, s61, exec_lo
	s_xor_b32 s61, exec_lo, -1
	s_or_not1_b32 s60, s60, exec_lo
.LBB8_12:                               ;   in Loop: Header=BB8_14 Depth=2
	s_or_b32 exec_lo, exec_lo, s58
	s_delay_alu instid0(SALU_CYCLE_1)
	s_and_not1_b32 s55, s55, exec_lo
	s_and_b32 s58, s62, exec_lo
	s_and_not1_b32 s54, s54, exec_lo
	s_or_b32 s55, s55, s58
	s_and_b32 s58, s61, exec_lo
	s_and_not1_b32 s53, s53, exec_lo
	s_and_b32 s57, s57, exec_lo
	s_and_not1_b32 s51, s51, exec_lo
	s_and_b32 s59, s59, exec_lo
	s_or_b32 s54, s54, s58
	s_and_not1_b32 s52, s52, exec_lo
	s_and_not1_b32 s50, s50, exec_lo
	s_and_b32 s58, s60, exec_lo
	s_or_b32 s53, s53, s57
	s_or_b32 s51, s51, s59
	;; [unrolled: 1-line block ×4, first 2 shown]
.LBB8_13:                               ;   in Loop: Header=BB8_14 Depth=2
	s_or_b32 exec_lo, exec_lo, s56
	s_xor_b32 s56, s55, -1
	s_and_b32 s57, exec_lo, s50
	s_delay_alu instid0(SALU_CYCLE_1)
	s_or_b32 s44, s57, s44
	s_and_not1_b32 s46, s46, exec_lo
	s_and_b32 s57, s53, exec_lo
	s_and_not1_b32 s48, s48, exec_lo
	s_or_b32 s46, s46, s57
	s_and_b32 s57, s54, exec_lo
	s_and_not1_b32 s47, s47, exec_lo
	s_and_b32 s58, s51, exec_lo
	s_or_b32 s48, s48, s57
	s_and_not1_b32 s49, s49, exec_lo
	s_and_b32 s57, s52, exec_lo
	s_and_not1_b32 s43, s43, exec_lo
	s_and_b32 s56, s56, exec_lo
	s_or_b32 s47, s47, s58
	s_or_b32 s49, s49, s57
	;; [unrolled: 1-line block ×3, first 2 shown]
	s_and_not1_b32 exec_lo, exec_lo, s44
	s_cbranch_execz .LBB8_18
.LBB8_14:                               ;   Parent Loop BB8_5 Depth=1
                                        ; =>  This Inner Loop Header: Depth=2
	s_delay_alu instid0(VALU_DEP_1)
	v_ashrrev_i32_e32 v6, 31, v5
	s_or_b32 s55, s55, exec_lo
	s_or_b32 s53, s53, exec_lo
	s_and_not1_b32 s54, s54, exec_lo
	s_and_not1_b32 s51, s51, exec_lo
	v_lshlrev_b64 v[15:16], 1, v[5:6]
	s_and_not1_b32 s52, s52, exec_lo
	s_or_b32 s50, s50, exec_lo
	s_mov_b32 s56, exec_lo
	s_delay_alu instid0(VALU_DEP_1) | instskip(NEXT) | instid1(VALU_DEP_2)
	v_add_co_u32 v15, vcc_lo, s38, v15
	v_add_co_ci_u32_e32 v16, vcc_lo, s39, v16, vcc_lo
	global_load_u16 v15, v[15:16], off
	s_waitcnt vmcnt(0)
	v_cmpx_o_f16_e32 v15, v15
	s_cbranch_execz .LBB8_13
; %bb.15:                               ;   in Loop: Header=BB8_14 Depth=2
	s_mov_b32 s57, 0
	s_mov_b32 s60, -1
	s_mov_b32 s59, 0
	s_mov_b32 s61, -1
	s_mov_b32 s62, -1
	s_mov_b32 s58, exec_lo
	v_cmpx_neq_f16_e64 0x7c00, |v15|
	s_cbranch_execz .LBB8_12
; %bb.16:                               ;   in Loop: Header=BB8_14 Depth=2
	s_mov_b32 s59, exec_lo
	v_cmpx_ngt_f16_e32 0, v15
	s_cbranch_execz .LBB8_11
; %bb.17:                               ;   in Loop: Header=BB8_14 Depth=2
	v_add_nc_u32_e32 v7, s42, v7
	v_cvt_f32_f16_e32 v6, v15
	v_add_nc_u32_e32 v5, s45, v5
	s_xor_b32 s61, exec_lo, -1
	s_delay_alu instid0(VALU_DEP_3) | instskip(NEXT) | instid1(VALU_DEP_3)
	v_cmp_le_i32_e32 vcc_lo, s7, v7
	v_add_f32_e32 v1, v1, v6
	s_or_not1_b32 s60, vcc_lo, exec_lo
	s_branch .LBB8_11
.LBB8_18:                               ;   in Loop: Header=BB8_5 Depth=1
	s_or_b32 exec_lo, exec_lo, s44
	s_delay_alu instid0(SALU_CYCLE_1)
	s_and_b32 s49, s49, exec_lo
	s_or_not1_b32 s47, s47, exec_lo
	s_and_b32 s45, s48, exec_lo
	s_and_b32 s44, s46, exec_lo
	s_or_not1_b32 s43, s43, exec_lo
.LBB8_19:                               ;   in Loop: Header=BB8_5 Depth=1
	s_or_b32 exec_lo, exec_lo, s41
	s_delay_alu instid0(SALU_CYCLE_1)
	s_and_b32 s46, s49, exec_lo
	s_or_not1_b32 s41, s47, exec_lo
	s_and_b32 s45, s45, exec_lo
	s_and_b32 s44, s44, exec_lo
	;; [unrolled: 1-line block ×3, first 2 shown]
.LBB8_20:                               ;   in Loop: Header=BB8_5 Depth=1
	s_or_b32 exec_lo, exec_lo, s40
	s_delay_alu instid0(SALU_CYCLE_1)
	s_and_b32 s47, s46, exec_lo
	s_and_b32 s46, s41, exec_lo
	s_or_not1_b32 s40, s45, exec_lo
	s_and_b32 s43, s44, exec_lo
	s_and_b32 s41, s42, exec_lo
.LBB8_21:                               ;   in Loop: Header=BB8_5 Depth=1
	s_or_b32 exec_lo, exec_lo, s37
	s_delay_alu instid0(SALU_CYCLE_1)
	s_and_b32 s45, s47, exec_lo
	s_and_b32 s44, s46, exec_lo
	;; [unrolled: 1-line block ×3, first 2 shown]
	s_or_not1_b32 s37, s43, exec_lo
	s_and_b32 s40, s41, exec_lo
.LBB8_22:                               ;   in Loop: Header=BB8_5 Depth=1
	s_or_b32 exec_lo, exec_lo, s1
	s_delay_alu instid0(SALU_CYCLE_1)
	s_and_b32 s41, s45, exec_lo
	s_and_b32 s39, s44, exec_lo
	;; [unrolled: 1-line block ×4, first 2 shown]
	s_or_not1_b32 s1, s40, exec_lo
.LBB8_23:                               ;   in Loop: Header=BB8_5 Depth=1
	s_or_b32 exec_lo, exec_lo, s0
	s_delay_alu instid0(SALU_CYCLE_1)
	s_and_not1_b32 s34, s34, exec_lo
	s_and_b32 s40, s41, exec_lo
	s_and_not1_b32 s36, s36, exec_lo
	s_and_not1_b32 s33, s33, exec_lo
	s_and_b32 s39, s39, exec_lo
	s_and_not1_b32 s35, s35, exec_lo
	s_and_b32 s38, s38, exec_lo
	;; [unrolled: 2-line block ×3, first 2 shown]
	s_mov_b32 s0, -1
	s_or_b32 s34, s34, s40
	s_or_b32 s36, s36, s40
	;; [unrolled: 1-line block ×5, first 2 shown]
	s_and_saveexec_b32 s37, s1
	s_cbranch_execz .LBB8_4
; %bb.24:                               ;   in Loop: Header=BB8_5 Depth=1
	v_cmp_gt_u32_e32 vcc_lo, 16, v8
	s_waitcnt_vscnt null, 0x0
	s_barrier
	buffer_gl0_inv
	v_cndmask_b32_e64 v5, 0, 1, vcc_lo
	v_cmp_gt_u32_e32 vcc_lo, 24, v8
	s_delay_alu instid0(VALU_DEP_2) | instskip(SKIP_2) | instid1(VALU_DEP_3)
	v_lshlrev_b32_e32 v5, 4, v5
	v_cndmask_b32_e64 v6, 0, 1, vcc_lo
	v_cmp_gt_u32_e32 vcc_lo, 28, v8
	v_add_lshl_u32 v5, v5, v8, 2
	ds_bpermute_b32 v7, v5, v1
	s_waitcnt lgkmcnt(0)
	v_dual_add_f32 v1, v1, v7 :: v_dual_lshlrev_b32 v6, 3, v6
	s_delay_alu instid0(VALU_DEP_1) | instskip(SKIP_4) | instid1(VALU_DEP_1)
	v_add_lshl_u32 v6, v6, v8, 2
	v_cndmask_b32_e64 v7, 0, 1, vcc_lo
	v_cmp_gt_u32_e32 vcc_lo, 30, v8
	ds_bpermute_b32 v16, v6, v1
	v_lshlrev_b32_e32 v7, 2, v7
	v_add_lshl_u32 v7, v7, v8, 2
	s_waitcnt lgkmcnt(0)
	v_add_f32_e32 v1, v1, v16
	v_cndmask_b32_e64 v16, 0, 1, vcc_lo
	v_cmp_ne_u32_e32 vcc_lo, 31, v8
	ds_bpermute_b32 v17, v7, v1
	v_lshlrev_b32_e32 v16, 1, v16
	v_add_co_ci_u32_e32 v18, vcc_lo, 0, v8, vcc_lo
	s_waitcnt lgkmcnt(0)
	v_add_f32_e32 v1, v1, v17
	s_delay_alu instid0(VALU_DEP_3)
	v_add_lshl_u32 v16, v16, v8, 2
	ds_bpermute_b32 v17, v16, v1
	s_waitcnt lgkmcnt(0)
	v_add_f32_e32 v1, v1, v17
	v_lshlrev_b32_e32 v17, 2, v18
	ds_bpermute_b32 v18, v17, v1
	s_and_saveexec_b32 s0, s5
	s_cbranch_execz .LBB8_26
; %bb.25:                               ;   in Loop: Header=BB8_5 Depth=1
	s_waitcnt lgkmcnt(0)
	v_add_f32_e32 v1, v1, v18
	ds_store_b32 v12, v1
.LBB8_26:                               ;   in Loop: Header=BB8_5 Depth=1
	s_or_b32 exec_lo, exec_lo, s0
	s_waitcnt lgkmcnt(0)
	s_barrier
	buffer_gl0_inv
	s_clause 0x1
	s_load_b32 s0, s[20:21], 0xc
	s_load_b32 s38, s[20:21], 0x0
	v_mov_b32_e32 v1, 0
	s_waitcnt lgkmcnt(0)
	s_bfe_u32 s1, s0, 0xb0005
	s_delay_alu instid0(SALU_CYCLE_1)
	v_cmp_gt_u32_e32 vcc_lo, s1, v0
	s_and_saveexec_b32 s1, vcc_lo
	s_cbranch_execz .LBB8_28
; %bb.27:                               ;   in Loop: Header=BB8_5 Depth=1
	ds_load_b32 v1, v9
.LBB8_28:                               ;   in Loop: Header=BB8_5 Depth=1
	s_or_b32 exec_lo, exec_lo, s1
	s_and_saveexec_b32 s1, s2
	s_cbranch_execz .LBB8_30
; %bb.29:                               ;   in Loop: Header=BB8_5 Depth=1
	s_waitcnt lgkmcnt(0)
	ds_bpermute_b32 v5, v5, v1
	s_waitcnt lgkmcnt(0)
	v_add_f32_e32 v1, v1, v5
	ds_bpermute_b32 v5, v6, v1
	s_waitcnt lgkmcnt(0)
	v_add_f32_e32 v1, v1, v5
	;; [unrolled: 3-line block ×5, first 2 shown]
.LBB8_30:                               ;   in Loop: Header=BB8_5 Depth=1
	s_or_b32 exec_lo, exec_lo, s1
	s_mov_b32 s1, -1
	s_mov_b32 s45, -1
                                        ; implicit-def: $sgpr40
                                        ; implicit-def: $sgpr41
                                        ; implicit-def: $sgpr39
                                        ; implicit-def: $sgpr43
                                        ; implicit-def: $sgpr42
	s_and_saveexec_b32 s44, s3
	s_cbranch_execz .LBB8_36
; %bb.31:                               ;   in Loop: Header=BB8_5 Depth=1
	s_mov_b32 s42, -1
	s_mov_b32 s39, 0
	s_mov_b32 s43, 0
	;; [unrolled: 1-line block ×3, first 2 shown]
	s_mov_b32 s40, exec_lo
	v_cmpx_neq_f16_e64 0x7c00, |v15|
	s_cbranch_execz .LBB8_35
; %bb.32:                               ;   in Loop: Header=BB8_5 Depth=1
	s_mov_b32 s41, 0
	s_mov_b32 s42, exec_lo
	s_waitcnt lgkmcnt(0)
	v_cmpx_lt_f32_e32 0, v1
	s_cbranch_execz .LBB8_34
; %bb.33:                               ;   in Loop: Header=BB8_5 Depth=1
	s_lshl_b64 s[46:47], s[22:23], 1
	s_mov_b32 s41, exec_lo
	s_add_u32 s46, s12, s46
	s_addc_u32 s47, s13, s47
	global_load_u16 v5, v2, s[46:47]
	s_waitcnt vmcnt(0)
	v_cvt_f32_f16_e32 v5, v5
	ds_store_b32 v2, v2
	ds_store_2addr_b32 v13, v1, v5 offset1:1
.LBB8_34:                               ;   in Loop: Header=BB8_5 Depth=1
	s_or_b32 exec_lo, exec_lo, s42
	s_delay_alu instid0(SALU_CYCLE_1)
	s_mov_b32 s45, exec_lo
	s_xor_b32 s42, exec_lo, -1
	s_and_b32 s43, s41, exec_lo
.LBB8_35:                               ;   in Loop: Header=BB8_5 Depth=1
	s_or_b32 exec_lo, exec_lo, s40
	s_delay_alu instid0(SALU_CYCLE_1)
	s_and_b32 s41, s45, exec_lo
	s_and_b32 s40, s42, exec_lo
	s_or_not1_b32 s45, s43, exec_lo
	s_mov_b32 s43, 0
	s_mov_b32 s42, 0
.LBB8_36:                               ;   in Loop: Header=BB8_5 Depth=1
	s_or_b32 exec_lo, exec_lo, s44
	s_and_saveexec_b32 s44, s45
	s_cbranch_execz .LBB8_3
; %bb.37:                               ;   in Loop: Header=BB8_5 Depth=1
	s_waitcnt lgkmcnt(0)
	s_barrier
	buffer_gl0_inv
	ds_load_2addr_b32 v[5:6], v13 offset1:1
	s_waitcnt lgkmcnt(0)
	s_barrier
	buffer_gl0_inv
	v_cmp_neq_f32_e32 vcc_lo, 0, v5
	s_cbranch_vccz .LBB8_66
; %bb.38:                               ;   in Loop: Header=BB8_5 Depth=1
	s_and_b32 s45, s0, 0xffff
	ds_store_b8 v2, v2 offset:4
	v_cvt_f32_u32_e32 v1, s45
	s_sub_i32 s1, 0, s45
	s_add_i32 s46, s25, s45
	s_delay_alu instid0(VALU_DEP_1) | instskip(SKIP_2) | instid1(VALU_DEP_1)
	v_rcp_iflag_f32_e32 v1, v1
	s_waitcnt_depctr 0xfff
	v_mul_f32_e32 v1, 0x4f7ffffe, v1
	v_cvt_u32_f32_e32 v1, v1
	s_delay_alu instid0(VALU_DEP_1) | instskip(NEXT) | instid1(VALU_DEP_1)
	v_readfirstlane_b32 s0, v1
	s_mul_i32 s1, s1, s0
	s_delay_alu instid0(SALU_CYCLE_1) | instskip(NEXT) | instid1(SALU_CYCLE_1)
	s_mul_hi_u32 s1, s0, s1
	s_add_i32 s0, s0, s1
	s_delay_alu instid0(SALU_CYCLE_1) | instskip(NEXT) | instid1(SALU_CYCLE_1)
	s_mul_hi_u32 s0, s46, s0
	s_mul_i32 s1, s0, s45
	s_delay_alu instid0(SALU_CYCLE_1)
	s_sub_i32 s1, s46, s1
	s_add_i32 s46, s0, 1
	s_sub_i32 s47, s1, s45
	s_cmp_ge_u32 s1, s45
	s_cselect_b32 s0, s46, s0
	s_cselect_b32 s1, s47, s1
	s_add_i32 s46, s0, 1
	s_cmp_ge_u32 s1, s45
	s_cselect_b32 s46, s46, s0
	s_mov_b32 s0, 0
	s_cmp_lt_i32 s46, 1
	s_cbranch_scc1 .LBB8_59
; %bb.39:                               ;   in Loop: Header=BB8_5 Depth=1
	s_mul_i32 s0, s22, s24
	s_mul_hi_u32 s1, s22, s18
	s_mul_i32 s47, s23, s18
	s_add_i32 s1, s1, s0
	s_mul_i32 s0, s22, s18
	s_add_i32 s1, s1, s47
	v_cvt_f16_f32_e32 v1, v6
	s_lshl_b64 s[0:1], s[0:1], 1
	v_mov_b32_e32 v16, 0
	s_add_u32 s47, s14, s0
	s_addc_u32 s48, s15, s1
	s_cmp_gt_u32 s45, 1
	s_mov_b32 s51, 0
	s_cselect_b32 s49, -1, 0
	s_lshl_b32 s0, s45, 2
	s_delay_alu instid0(SALU_CYCLE_1) | instskip(NEXT) | instid1(SALU_CYCLE_1)
	s_add_i32 s50, s0, 8
	s_add_i32 s50, s50, -4
	s_branch .LBB8_42
.LBB8_40:                               ;   in Loop: Header=BB8_42 Depth=2
	s_or_b32 exec_lo, exec_lo, s1
	ds_store_b8 v2, v14 offset:4
.LBB8_41:                               ;   in Loop: Header=BB8_42 Depth=2
	s_or_b32 exec_lo, exec_lo, s52
	v_mov_b32_e32 v6, s50
	s_add_i32 s51, s51, 1
	s_delay_alu instid0(SALU_CYCLE_1)
	s_cmp_ge_i32 s51, s46
	s_cselect_b32 s1, -1, 0
	ds_load_b32 v6, v6
	s_waitcnt lgkmcnt(0)
	s_barrier
	buffer_gl0_inv
	ds_load_u8 v7, v2 offset:4
	v_add_f32_e32 v16, v16, v6
	s_waitcnt lgkmcnt(0)
	v_readfirstlane_b32 s0, v7
	s_delay_alu instid0(VALU_DEP_1) | instskip(SKIP_1) | instid1(SALU_CYCLE_1)
	s_bitcmp1_b32 s0, 0
	s_cselect_b32 s0, -1, 0
	s_or_b32 s1, s1, s0
	s_delay_alu instid0(SALU_CYCLE_1)
	s_and_b32 vcc_lo, exec_lo, s1
	s_cbranch_vccnz .LBB8_59
.LBB8_42:                               ;   Parent Loop BB8_5 Depth=1
                                        ; =>  This Loop Header: Depth=2
                                        ;       Child Loop BB8_47 Depth 3
                                        ;       Child Loop BB8_56 Depth 3
	v_mad_u64_u32 v[6:7], null, s51, s45, v[0:1]
	v_mov_b32_e32 v7, 0
	s_delay_alu instid0(VALU_DEP_2) | instskip(NEXT) | instid1(VALU_DEP_1)
	v_cmp_gt_i32_e64 s0, s7, v6
	s_and_saveexec_b32 s1, s0
	s_cbranch_execz .LBB8_44
; %bb.43:                               ;   in Loop: Header=BB8_42 Depth=2
	v_mul_lo_u32 v17, v6, s19
	s_delay_alu instid0(VALU_DEP_1) | instskip(NEXT) | instid1(VALU_DEP_1)
	v_ashrrev_i32_e32 v18, 31, v17
	v_lshlrev_b64 v[17:18], 1, v[17:18]
	s_delay_alu instid0(VALU_DEP_1) | instskip(NEXT) | instid1(VALU_DEP_2)
	v_add_co_u32 v17, vcc_lo, s47, v17
	v_add_co_ci_u32_e32 v18, vcc_lo, s48, v18, vcc_lo
	global_load_u16 v7, v[17:18], off
	s_waitcnt vmcnt(0)
	v_cvt_f32_f16_e32 v7, v7
	s_delay_alu instid0(VALU_DEP_1) | instskip(NEXT) | instid1(VALU_DEP_1)
	v_div_scale_f32 v17, null, v5, v5, v7
	v_rcp_f32_e32 v18, v17
	s_waitcnt_depctr 0xfff
	v_fma_f32 v19, -v17, v18, 1.0
	s_delay_alu instid0(VALU_DEP_1) | instskip(SKIP_1) | instid1(VALU_DEP_1)
	v_fmac_f32_e32 v18, v19, v18
	v_div_scale_f32 v19, vcc_lo, v7, v5, v7
	v_mul_f32_e32 v20, v19, v18
	s_delay_alu instid0(VALU_DEP_1) | instskip(NEXT) | instid1(VALU_DEP_1)
	v_fma_f32 v21, -v17, v20, v19
	v_fmac_f32_e32 v20, v21, v18
	s_delay_alu instid0(VALU_DEP_1) | instskip(NEXT) | instid1(VALU_DEP_1)
	v_fma_f32 v17, -v17, v20, v19
	v_div_fmas_f32 v17, v17, v18, v20
	s_delay_alu instid0(VALU_DEP_1)
	v_div_fixup_f32 v7, v17, v5, v7
.LBB8_44:                               ;   in Loop: Header=BB8_42 Depth=2
	s_or_b32 exec_lo, exec_lo, s1
	s_delay_alu instid0(SALU_CYCLE_1)
	s_and_not1_b32 vcc_lo, exec_lo, s49
	ds_store_b32 v10, v7
	s_waitcnt lgkmcnt(0)
	s_barrier
	buffer_gl0_inv
	s_cbranch_vccnz .LBB8_51
; %bb.45:                               ;   in Loop: Header=BB8_42 Depth=2
	s_mov_b32 s1, 1
	s_branch .LBB8_47
	.p2align	6
.LBB8_46:                               ;   in Loop: Header=BB8_47 Depth=3
	s_or_b32 exec_lo, exec_lo, s52
	s_lshl_b32 s1, s1, 1
	s_waitcnt lgkmcnt(0)
	s_cmp_ge_u32 s1, s45
	s_barrier
	buffer_gl0_inv
	s_cbranch_scc1 .LBB8_51
.LBB8_47:                               ;   Parent Loop BB8_5 Depth=1
                                        ;     Parent Loop BB8_42 Depth=2
                                        ; =>    This Inner Loop Header: Depth=3
	v_cmp_le_u32_e32 vcc_lo, s1, v0
	v_mov_b32_e32 v17, 0
	s_and_saveexec_b32 s52, vcc_lo
	s_cbranch_execz .LBB8_49
; %bb.48:                               ;   in Loop: Header=BB8_47 Depth=3
	v_subrev_nc_u32_e32 v17, s1, v0
	s_delay_alu instid0(VALU_DEP_1)
	v_lshl_add_u32 v17, v17, 2, 8
	ds_load_b32 v17, v17
	ds_load_b32 v18, v10
	s_waitcnt lgkmcnt(0)
	v_add_f32_e32 v17, v17, v18
.LBB8_49:                               ;   in Loop: Header=BB8_47 Depth=3
	s_or_b32 exec_lo, exec_lo, s52
	s_barrier
	buffer_gl0_inv
	s_and_saveexec_b32 s52, vcc_lo
	s_cbranch_execz .LBB8_46
; %bb.50:                               ;   in Loop: Header=BB8_47 Depth=3
	ds_store_b32 v10, v17
	s_branch .LBB8_46
.LBB8_51:                               ;   in Loop: Header=BB8_42 Depth=2
	ds_load_b32 v17, v10
	v_mov_b32_e32 v18, v16
	s_and_saveexec_b32 s1, s4
	s_cbranch_execz .LBB8_53
; %bb.52:                               ;   in Loop: Header=BB8_42 Depth=2
	ds_load_b32 v18, v11
	s_waitcnt lgkmcnt(0)
	v_add_f32_e32 v18, v16, v18
.LBB8_53:                               ;   in Loop: Header=BB8_42 Depth=2
	s_or_b32 exec_lo, exec_lo, s1
	s_and_saveexec_b32 s52, s0
	s_cbranch_execz .LBB8_41
; %bb.54:                               ;   in Loop: Header=BB8_42 Depth=2
	s_waitcnt lgkmcnt(0)
	v_add_f32_e32 v17, v16, v17
	v_cvt_f16_f32_e32 v18, v18
	v_cmp_lt_f32_e64 s1, 0, v7
	s_delay_alu instid0(VALU_DEP_3) | instskip(NEXT) | instid1(VALU_DEP_3)
	v_cvt_f16_f32_e32 v17, v17
	v_cmp_ge_f16_e64 s0, v1, v18
	s_delay_alu instid0(VALU_DEP_2) | instskip(NEXT) | instid1(VALU_DEP_2)
	v_cmp_nge_f16_e32 vcc_lo, v1, v17
	s_and_b32 s0, vcc_lo, s0
	s_delay_alu instid0(SALU_CYCLE_1) | instskip(NEXT) | instid1(SALU_CYCLE_1)
	s_and_b32 s0, s0, s1
	s_and_b32 exec_lo, exec_lo, s0
	s_cbranch_execz .LBB8_41
; %bb.55:                               ;   in Loop: Header=BB8_42 Depth=2
	s_mov_b32 s1, exec_lo
	s_mov_b32 s0, 0
.LBB8_56:                               ;   Parent Loop BB8_5 Depth=1
                                        ;     Parent Loop BB8_42 Depth=2
                                        ; =>    This Inner Loop Header: Depth=3
	s_ctz_i32_b32 s53, s1
	s_delay_alu instid0(SALU_CYCLE_1) | instskip(SKIP_1) | instid1(SALU_CYCLE_1)
	v_readlane_b32 s54, v6, s53
	s_lshl_b32 s53, 1, s53
	s_and_not1_b32 s1, s1, s53
	s_delay_alu instid0(VALU_DEP_1)
	s_max_u32 s0, s0, s54
	s_cmp_lg_u32 s1, 0
	s_cbranch_scc1 .LBB8_56
; %bb.57:                               ;   in Loop: Header=BB8_42 Depth=2
	v_mbcnt_lo_u32_b32 v6, exec_lo, 0
	s_mov_b32 s1, exec_lo
	s_delay_alu instid0(VALU_DEP_1)
	v_cmpx_eq_u32_e32 0, v6
	s_xor_b32 s1, exec_lo, s1
	s_cbranch_execz .LBB8_40
; %bb.58:                               ;   in Loop: Header=BB8_42 Depth=2
	v_mov_b32_e32 v6, s0
	ds_max_u32 v2, v6
	s_branch .LBB8_40
.LBB8_59:                               ;   in Loop: Header=BB8_5 Depth=1
	s_xor_b32 s1, s0, -1
	s_mov_b32 s45, 0
	s_mov_b32 s0, 0
	s_and_saveexec_b32 s46, s3
	s_cbranch_execz .LBB8_70
; %bb.60:                               ;   in Loop: Header=BB8_5 Depth=1
	s_and_b32 vcc_lo, exec_lo, s1
	s_cbranch_vccz .LBB8_67
; %bb.61:                               ;   in Loop: Header=BB8_5 Depth=1
	s_mul_i32 s0, s22, s24
	s_mul_hi_u32 s1, s22, s18
	s_mul_i32 s47, s23, s18
	s_add_i32 s1, s1, s0
	s_mul_i32 s0, s22, s18
	s_add_i32 s1, s1, s47
	s_mov_b32 s47, s7
	s_lshl_b64 s[48:49], s[0:1], 1
	s_mov_b32 s0, s26
	s_add_u32 s48, s14, s48
	s_addc_u32 s49, s15, s49
	s_branch .LBB8_63
	.p2align	6
.LBB8_62:                               ;   in Loop: Header=BB8_63 Depth=2
	s_ashr_i32 s1, s0, 31
	s_add_i32 s47, s47, -1
	s_lshl_b64 s[50:51], s[0:1], 1
	s_mov_b32 s1, 0
	s_add_u32 s50, s48, s50
	s_addc_u32 s51, s49, s51
	s_sub_i32 s0, s0, s19
	global_load_u16 v1, v2, s[50:51]
	s_waitcnt vmcnt(0)
	v_cmp_lt_f16_e64 s50, 0, v1
	s_delay_alu instid0(VALU_DEP_1)
	s_and_not1_b32 vcc_lo, exec_lo, s50
	s_cbranch_vccz .LBB8_65
.LBB8_63:                               ;   Parent Loop BB8_5 Depth=1
                                        ; =>  This Inner Loop Header: Depth=2
	s_cmp_lt_i32 s47, 1
	s_cbranch_scc0 .LBB8_62
; %bb.64:                               ;   in Loop: Header=BB8_5 Depth=1
	s_mov_b32 s1, -1
                                        ; implicit-def: $sgpr0
                                        ; implicit-def: $sgpr47
.LBB8_65:                               ;   in Loop: Header=BB8_5 Depth=1
	s_delay_alu instid0(SALU_CYCLE_1)
	s_xor_b32 s0, s1, -1
	v_mov_b32_e32 v1, s47
	s_branch .LBB8_69
.LBB8_66:                               ;   in Loop: Header=BB8_5 Depth=1
	s_mov_b32 s0, 0
	s_cbranch_execnz .LBB8_71
	s_branch .LBB8_72
.LBB8_67:                               ;   in Loop: Header=BB8_5 Depth=1
                                        ; implicit-def: $sgpr47
	v_mov_b32_e32 v1, s47
	s_cbranch_execz .LBB8_69
; %bb.68:                               ;   in Loop: Header=BB8_5 Depth=1
	ds_load_b32 v1, v2
	s_mov_b32 s0, -1
.LBB8_69:                               ;   in Loop: Header=BB8_5 Depth=1
	s_delay_alu instid0(SALU_CYCLE_1)
	s_and_b32 s0, s0, exec_lo
.LBB8_70:                               ;   in Loop: Header=BB8_5 Depth=1
	s_or_b32 exec_lo, exec_lo, s46
	s_delay_alu instid0(SALU_CYCLE_1)
	s_and_b32 vcc_lo, exec_lo, s45
	s_cbranch_vccz .LBB8_72
.LBB8_71:                               ;   in Loop: Header=BB8_5 Depth=1
	s_waitcnt lgkmcnt(0)
	v_mov_b32_e32 v1, 0
	s_and_not1_b32 s0, s0, exec_lo
	s_and_b32 s1, s3, exec_lo
	s_delay_alu instid0(SALU_CYCLE_1)
	s_or_b32 s0, s0, s1
.LBB8_72:                               ;   in Loop: Header=BB8_5 Depth=1
	s_delay_alu instid0(SALU_CYCLE_1)
	s_and_saveexec_b32 s1, s0
	s_cbranch_execz .LBB8_2
; %bb.73:                               ;   in Loop: Header=BB8_5 Depth=1
	s_lshl_b64 s[46:47], s[22:23], 3
	s_delay_alu instid0(SALU_CYCLE_1)
	s_add_u32 s46, s8, s46
	s_addc_u32 s47, s9, s47
	s_waitcnt lgkmcnt(0)
	global_store_b64 v2, v[1:2], s[46:47]
	s_branch .LBB8_2
.LBB8_74:
	s_or_b32 exec_lo, exec_lo, s17
	s_xor_b32 s3, s30, -1
	s_xor_b32 s5, s28, -1
	;; [unrolled: 1-line block ×4, first 2 shown]
	s_mov_b32 s1, 0
	s_and_saveexec_b32 s2, s0
	s_delay_alu instid0(SALU_CYCLE_1)
	s_xor_b32 s0, exec_lo, s2
	s_cbranch_execz .LBB8_86
; %bb.75:
	s_mov_b32 s2, 0
	s_and_saveexec_b32 s1, s4
	s_delay_alu instid0(SALU_CYCLE_1)
	s_xor_b32 s1, exec_lo, s1
	s_cbranch_execz .LBB8_84
; %bb.76:
	;; [unrolled: 6-line block ×3, first 2 shown]
	s_and_saveexec_b32 s5, s3
	s_delay_alu instid0(SALU_CYCLE_1)
	s_xor_b32 s3, exec_lo, s5
	s_cbranch_execz .LBB8_80
; %bb.78:
	s_and_saveexec_b32 s5, s16
	s_delay_alu instid0(SALU_CYCLE_1)
	s_xor_b32 s5, exec_lo, s5
	s_cbranch_execnz .LBB8_104
.LBB8_79:
	s_or_b32 exec_lo, exec_lo, s5
	s_delay_alu instid0(SALU_CYCLE_1)
	s_and_b32 s4, s4, exec_lo
.LBB8_80:
	s_and_not1_saveexec_b32 s3, s3
	s_cbranch_execnz .LBB8_100
.LBB8_81:
	s_or_b32 exec_lo, exec_lo, s3
	s_delay_alu instid0(SALU_CYCLE_1)
	s_and_b32 s4, s4, exec_lo
.LBB8_82:
	s_and_not1_saveexec_b32 s2, s2
	s_cbranch_execnz .LBB8_96
.LBB8_83:
	s_or_b32 exec_lo, exec_lo, s2
	s_delay_alu instid0(SALU_CYCLE_1)
	s_and_b32 s2, s4, exec_lo
.LBB8_84:
	s_and_not1_saveexec_b32 s1, s1
	s_cbranch_execnz .LBB8_92
.LBB8_85:
	s_or_b32 exec_lo, exec_lo, s1
	s_delay_alu instid0(SALU_CYCLE_1)
	s_and_b32 s1, s2, exec_lo
.LBB8_86:
	s_and_not1_saveexec_b32 s0, s0
	s_cbranch_execnz .LBB8_90
; %bb.87:
	s_or_b32 exec_lo, exec_lo, s0
	s_and_saveexec_b32 s0, s1
.LBB8_88:
	; divergent unreachable
.LBB8_89:
	s_nop 0
	s_sendmsg sendmsg(MSG_DEALLOC_VGPRS)
	s_endpgm
.LBB8_90:
	s_cbranch_execnz .LBB8_94
; %bb.91:
	s_or_b32 s1, s1, exec_lo
	s_or_b32 exec_lo, exec_lo, s0
	s_and_saveexec_b32 s0, s1
	s_cbranch_execnz .LBB8_88
	s_branch .LBB8_89
.LBB8_92:
	s_cbranch_execnz .LBB8_98
; %bb.93:
	s_or_b32 s2, s2, exec_lo
	s_branch .LBB8_85
.LBB8_94:
	s_trap 2
	s_sendmsg_rtn_b32 s0, sendmsg(MSG_RTN_GET_DOORBELL)
	s_mov_b32 ttmp2, m0
	s_waitcnt lgkmcnt(0)
	s_and_b32 s0, s0, 0x3ff
	s_delay_alu instid0(SALU_CYCLE_1) | instskip(NEXT) | instid1(SALU_CYCLE_1)
	s_bitset1_b32 s0, 10
	s_mov_b32 m0, s0
	s_sendmsg sendmsg(MSG_INTERRUPT)
	s_mov_b32 m0, ttmp2
.LBB8_95:                               ; =>This Inner Loop Header: Depth=1
	s_sethalt 5
	s_branch .LBB8_95
.LBB8_96:
	s_cbranch_execnz .LBB8_102
; %bb.97:
	s_or_b32 s4, s4, exec_lo
	s_branch .LBB8_83
.LBB8_98:
	s_trap 2
	s_sendmsg_rtn_b32 s0, sendmsg(MSG_RTN_GET_DOORBELL)
	s_mov_b32 ttmp2, m0
	s_waitcnt lgkmcnt(0)
	s_and_b32 s0, s0, 0x3ff
	s_delay_alu instid0(SALU_CYCLE_1) | instskip(NEXT) | instid1(SALU_CYCLE_1)
	s_bitset1_b32 s0, 10
	s_mov_b32 m0, s0
	s_sendmsg sendmsg(MSG_INTERRUPT)
	s_mov_b32 m0, ttmp2
.LBB8_99:                               ; =>This Inner Loop Header: Depth=1
	s_sethalt 5
	s_branch .LBB8_99
.LBB8_100:
	s_cbranch_execnz .LBB8_106
; %bb.101:
	s_or_b32 s4, s4, exec_lo
	s_branch .LBB8_81
.LBB8_102:
	s_trap 2
	s_sendmsg_rtn_b32 s0, sendmsg(MSG_RTN_GET_DOORBELL)
	s_mov_b32 ttmp2, m0
	s_waitcnt lgkmcnt(0)
	s_and_b32 s0, s0, 0x3ff
	s_delay_alu instid0(SALU_CYCLE_1) | instskip(NEXT) | instid1(SALU_CYCLE_1)
	s_bitset1_b32 s0, 10
	s_mov_b32 m0, s0
	s_sendmsg sendmsg(MSG_INTERRUPT)
	s_mov_b32 m0, ttmp2
.LBB8_103:                              ; =>This Inner Loop Header: Depth=1
	s_sethalt 5
	s_branch .LBB8_103
.LBB8_104:
	s_cbranch_execnz .LBB8_108
; %bb.105:
	s_mov_b32 s4, exec_lo
	s_branch .LBB8_79
.LBB8_106:
	s_trap 2
	s_sendmsg_rtn_b32 s0, sendmsg(MSG_RTN_GET_DOORBELL)
	s_mov_b32 ttmp2, m0
	s_waitcnt lgkmcnt(0)
	s_and_b32 s0, s0, 0x3ff
	s_delay_alu instid0(SALU_CYCLE_1) | instskip(NEXT) | instid1(SALU_CYCLE_1)
	s_bitset1_b32 s0, 10
	s_mov_b32 m0, s0
	s_sendmsg sendmsg(MSG_INTERRUPT)
	s_mov_b32 m0, ttmp2
.LBB8_107:                              ; =>This Inner Loop Header: Depth=1
	s_sethalt 5
	s_branch .LBB8_107
.LBB8_108:
	s_trap 2
	s_sendmsg_rtn_b32 s0, sendmsg(MSG_RTN_GET_DOORBELL)
	s_mov_b32 ttmp2, m0
	s_waitcnt lgkmcnt(0)
	s_and_b32 s0, s0, 0x3ff
	s_delay_alu instid0(SALU_CYCLE_1) | instskip(NEXT) | instid1(SALU_CYCLE_1)
	s_bitset1_b32 s0, 10
	s_mov_b32 m0, s0
	s_sendmsg sendmsg(MSG_INTERRUPT)
	s_mov_b32 m0, ttmp2
.LBB8_109:                              ; =>This Inner Loop Header: Depth=1
	s_sethalt 5
	s_branch .LBB8_109
	.section	.rodata,"a",@progbits
	.p2align	6, 0x0
	.amdhsa_kernel _ZN2at6native12_GLOBAL__N_121sampleMultinomialOnceIN3c104HalfEfEEvPlliPKT_S8_ii
		.amdhsa_group_segment_fixed_size 8
		.amdhsa_private_segment_fixed_size 0
		.amdhsa_kernarg_size 304
		.amdhsa_user_sgpr_count 15
		.amdhsa_user_sgpr_dispatch_ptr 0
		.amdhsa_user_sgpr_queue_ptr 0
		.amdhsa_user_sgpr_kernarg_segment_ptr 1
		.amdhsa_user_sgpr_dispatch_id 0
		.amdhsa_user_sgpr_private_segment_size 0
		.amdhsa_wavefront_size32 1
		.amdhsa_uses_dynamic_stack 0
		.amdhsa_enable_private_segment 0
		.amdhsa_system_sgpr_workgroup_id_x 1
		.amdhsa_system_sgpr_workgroup_id_y 0
		.amdhsa_system_sgpr_workgroup_id_z 0
		.amdhsa_system_sgpr_workgroup_info 0
		.amdhsa_system_vgpr_workitem_id 0
		.amdhsa_next_free_vgpr 22
		.amdhsa_next_free_sgpr 63
		.amdhsa_reserve_vcc 1
		.amdhsa_float_round_mode_32 0
		.amdhsa_float_round_mode_16_64 0
		.amdhsa_float_denorm_mode_32 3
		.amdhsa_float_denorm_mode_16_64 3
		.amdhsa_dx10_clamp 1
		.amdhsa_ieee_mode 1
		.amdhsa_fp16_overflow 0
		.amdhsa_workgroup_processor_mode 1
		.amdhsa_memory_ordered 1
		.amdhsa_forward_progress 0
		.amdhsa_shared_vgpr_count 0
		.amdhsa_exception_fp_ieee_invalid_op 0
		.amdhsa_exception_fp_denorm_src 0
		.amdhsa_exception_fp_ieee_div_zero 0
		.amdhsa_exception_fp_ieee_overflow 0
		.amdhsa_exception_fp_ieee_underflow 0
		.amdhsa_exception_fp_ieee_inexact 0
		.amdhsa_exception_int_div_zero 0
	.end_amdhsa_kernel
	.section	.text._ZN2at6native12_GLOBAL__N_121sampleMultinomialOnceIN3c104HalfEfEEvPlliPKT_S8_ii,"axG",@progbits,_ZN2at6native12_GLOBAL__N_121sampleMultinomialOnceIN3c104HalfEfEEvPlliPKT_S8_ii,comdat
.Lfunc_end8:
	.size	_ZN2at6native12_GLOBAL__N_121sampleMultinomialOnceIN3c104HalfEfEEvPlliPKT_S8_ii, .Lfunc_end8-_ZN2at6native12_GLOBAL__N_121sampleMultinomialOnceIN3c104HalfEfEEvPlliPKT_S8_ii
                                        ; -- End function
	.section	.AMDGPU.csdata,"",@progbits
; Kernel info:
; codeLenInByte = 3620
; NumSgprs: 65
; NumVgprs: 22
; ScratchSize: 0
; MemoryBound: 0
; FloatMode: 240
; IeeeMode: 1
; LDSByteSize: 8 bytes/workgroup (compile time only)
; SGPRBlocks: 8
; VGPRBlocks: 2
; NumSGPRsForWavesPerEU: 65
; NumVGPRsForWavesPerEU: 22
; Occupancy: 16
; WaveLimiterHint : 0
; COMPUTE_PGM_RSRC2:SCRATCH_EN: 0
; COMPUTE_PGM_RSRC2:USER_SGPR: 15
; COMPUTE_PGM_RSRC2:TRAP_HANDLER: 0
; COMPUTE_PGM_RSRC2:TGID_X_EN: 1
; COMPUTE_PGM_RSRC2:TGID_Y_EN: 0
; COMPUTE_PGM_RSRC2:TGID_Z_EN: 0
; COMPUTE_PGM_RSRC2:TIDIG_COMP_CNT: 0
	.section	.text._ZN2at6native12_GLOBAL__N_132sampleMultinomialWithReplacementIN3c104HalfEEEvNS_15PhiloxCudaStateEiPlliPKT_S9_,"axG",@progbits,_ZN2at6native12_GLOBAL__N_132sampleMultinomialWithReplacementIN3c104HalfEEEvNS_15PhiloxCudaStateEiPlliPKT_S9_,comdat
	.globl	_ZN2at6native12_GLOBAL__N_132sampleMultinomialWithReplacementIN3c104HalfEEEvNS_15PhiloxCudaStateEiPlliPKT_S9_ ; -- Begin function _ZN2at6native12_GLOBAL__N_132sampleMultinomialWithReplacementIN3c104HalfEEEvNS_15PhiloxCudaStateEiPlliPKT_S9_
	.p2align	8
	.type	_ZN2at6native12_GLOBAL__N_132sampleMultinomialWithReplacementIN3c104HalfEEEvNS_15PhiloxCudaStateEiPlliPKT_S9_,@function
_ZN2at6native12_GLOBAL__N_132sampleMultinomialWithReplacementIN3c104HalfEEEvNS_15PhiloxCudaStateEiPlliPKT_S9_: ; @_ZN2at6native12_GLOBAL__N_132sampleMultinomialWithReplacementIN3c104HalfEEEvNS_15PhiloxCudaStateEiPlliPKT_S9_
; %bb.0:
	s_clause 0x1
	s_load_b128 s[4:7], s[0:1], 0x0
	s_load_b32 s3, s[0:1], 0x18
	s_mov_b32 s2, s15
	s_waitcnt lgkmcnt(0)
	v_dual_mov_b32 v12, s7 :: v_dual_mov_b32 v11, s6
	v_dual_mov_b32 v1, s4 :: v_dual_mov_b32 v2, s5
	s_bitcmp0_b32 s3, 0
	s_mov_b32 s3, 0
	s_cbranch_scc1 .LBB9_2
; %bb.1:
	v_dual_mov_b32 v1, s6 :: v_dual_mov_b32 v2, s7
	flat_load_b64 v[3:4], v[1:2]
	v_dual_mov_b32 v1, s4 :: v_dual_mov_b32 v2, s5
	s_load_b64 s[4:5], s[0:1], 0x10
	flat_load_b64 v[1:2], v[1:2]
	s_waitcnt vmcnt(1) lgkmcnt(0)
	v_add_co_u32 v11, vcc_lo, v3, s4
	v_add_co_ci_u32_e32 v12, vcc_lo, s5, v4, vcc_lo
.LBB9_2:
	s_load_b128 s[4:7], s[0:1], 0x28
	s_waitcnt lgkmcnt(0)
	v_cmp_ge_i64_e64 s8, s[2:3], s[6:7]
	s_delay_alu instid0(VALU_DEP_1)
	s_and_b32 vcc_lo, exec_lo, s8
	s_cbranch_vccnz .LBB9_36
; %bb.3:
	s_clause 0x2
	s_load_b32 s12, s[0:1], 0x38
	s_load_b32 s25, s[0:1], 0x50
	;; [unrolled: 1-line block ×3, first 2 shown]
	v_alignbit_b32 v14, v12, v11, 2
	v_lshrrev_b32_e32 v18, 2, v12
	s_waitcnt vmcnt(0)
	v_mov_b32_e32 v31, v2
	v_add_co_u32 v15, null, 0x9e3779b9, v1
	v_mad_u64_u32 v[5:6], null, 0xd2511f53, v14, 0
	s_delay_alu instid0(VALU_DEP_3)
	v_add_co_u32 v16, null, 0xbb67ae85, v31
	v_add_co_u32 v19, null, 0x76cf5d0a, v31
	;; [unrolled: 1-line block ×5, first 2 shown]
	s_waitcnt lgkmcnt(0)
	s_ashr_i32 s13, s12, 31
	s_mul_i32 s18, s25, s2
	s_add_u32 s16, s0, 0x50
	s_addc_u32 s17, s1, 0
	s_add_i32 s18, s18, s14
	s_and_b32 s15, s15, 0xffff
	v_add_co_u32 v23, null, 0xed9eba14, v31
	v_mad_u64_u32 v[3:4], null, s18, s15, v[0:1]
	v_xor_b32_e32 v4, v6, v2
	v_add_co_u32 v24, null, 0x78dde6e4, v1
	v_add_co_u32 v25, null, 0x1715609d, v1
	;; [unrolled: 1-line block ×3, first 2 shown]
	v_mad_u64_u32 v[6:7], null, 0xcd9e8d57, v3, 0
	v_ashrrev_i32_e32 v17, 31, v3
	v_add_co_u32 v27, null, 0x646e171e, v31
	v_add_co_u32 v28, null, 0xb54cda56, v1
	s_delay_alu instid0(VALU_DEP_3) | instskip(SKIP_3) | instid1(VALU_DEP_4)
	v_xor_b32_e32 v4, v4, v17
	v_xor3_b32 v12, v1, v7, v18
	v_add_co_u32 v29, null, 0x5384540f, v1
	v_add_co_u32 v30, null, 0x1fd5c5a3, v31
	v_mad_u64_u32 v[7:8], null, 0xcd9e8d57, v4, 0
	s_delay_alu instid0(VALU_DEP_4) | instskip(SKIP_4) | instid1(VALU_DEP_3)
	v_mad_u64_u32 v[9:10], null, 0xd2511f53, v12, 0
	s_clause 0x1
	s_load_b128 s[8:11], s[0:1], 0x40
	s_load_b32 s20, s[0:1], 0x20
	v_add_co_u32 v32, null, 0xf1bbcdc8, v1
	v_xor3_b32 v6, v15, v8, v6
	v_add_nc_u32_e32 v33, 0x8ff34781, v1
	s_delay_alu instid0(VALU_DEP_4) | instskip(SKIP_3) | instid1(VALU_DEP_3)
	v_xor3_b32 v8, v16, v10, v5
	v_cmp_gt_i64_e64 s22, s[12:13], 0
	s_mov_b32 s21, 0
	v_mad_u64_u32 v[4:5], null, 0xd2511f53, v6, 0
	v_mad_u64_u32 v[12:13], null, 0xcd9e8d57, v8, 0
	s_add_i32 s23, s12, -1
	s_mul_i32 s25, s25, s15
	s_mov_b32 s27, 0x2f800000
                                        ; implicit-def: $sgpr26
                                        ; implicit-def: $sgpr28
	v_add_nc_u32_e32 v34, 0x96a522ad, v2
	s_delay_alu instid0(VALU_DEP_3) | instskip(NEXT) | instid1(VALU_DEP_3)
	v_xor3_b32 v8, v19, v5, v9
	v_xor3_b32 v9, v20, v13, v7
	s_waitcnt lgkmcnt(0)
	s_ashr_i32 s24, s20, 31
	s_delay_alu instid0(VALU_DEP_2) | instskip(NEXT) | instid1(VALU_DEP_2)
	v_mad_u64_u32 v[5:6], null, 0xcd9e8d57, v8, 0
	v_mad_u64_u32 v[7:8], null, 0xd2511f53, v9, 0
	s_delay_alu instid0(VALU_DEP_2) | instskip(NEXT) | instid1(VALU_DEP_2)
	v_xor3_b32 v6, v21, v6, v12
	v_xor3_b32 v4, v22, v8, v4
	s_delay_alu instid0(VALU_DEP_2) | instskip(NEXT) | instid1(VALU_DEP_2)
	v_mad_u64_u32 v[8:9], null, 0xd2511f53, v6, 0
	v_mad_u64_u32 v[12:13], null, 0xcd9e8d57, v4, 0
	s_delay_alu instid0(VALU_DEP_2) | instskip(NEXT) | instid1(VALU_DEP_2)
	v_xor3_b32 v6, v23, v9, v7
	v_xor3_b32 v9, v24, v13, v5
	;; [unrolled: 6-line block ×5, first 2 shown]
	s_delay_alu instid0(VALU_DEP_2) | instskip(NEXT) | instid1(VALU_DEP_2)
	v_mad_u64_u32 v[35:36], null, 0xd2511f53, v5, 0
	v_mad_u64_u32 v[37:38], null, 0xcd9e8d57, v6, 0
	;; [unrolled: 1-line block ×3, first 2 shown]
	v_and_b32_e32 v0, 3, v11
	v_add_co_u32 v31, null, 0xdb3d7428, v31
	v_mov_b32_e32 v5, 0
	v_xor3_b32 v4, v32, v38, v4
	s_lshl_b64 s[14:15], s[12:13], 1
	s_delay_alu instid0(VALU_DEP_3) | instskip(SKIP_1) | instid1(VALU_DEP_2)
	v_xor3_b32 v8, v31, v36, v12
	v_cmp_gt_i32_e64 s0, s20, v6
	v_mad_u64_u32 v[9:10], null, 0xcd9e8d57, v8, 0
	v_mad_u64_u32 v[7:8], null, 0xd2511f53, v4, 0
	s_delay_alu instid0(VALU_DEP_2) | instskip(NEXT) | instid1(VALU_DEP_2)
	v_xor3_b32 v10, v10, v37, v33
	v_xor3_b32 v8, v8, v35, v34
	s_branch .LBB9_5
.LBB9_4:                                ;   in Loop: Header=BB9_5 Depth=1
	s_or_b32 exec_lo, exec_lo, s19
	s_delay_alu instid0(SALU_CYCLE_1) | instskip(NEXT) | instid1(SALU_CYCLE_1)
	s_and_b32 s1, exec_lo, s18
	s_or_b32 s21, s1, s21
	s_and_not1_b32 s1, s26, exec_lo
	s_and_b32 s18, s28, exec_lo
	s_delay_alu instid0(SALU_CYCLE_1)
	s_or_b32 s26, s1, s18
	s_and_not1_b32 exec_lo, exec_lo, s21
	s_cbranch_execz .LBB9_35
.LBB9_5:                                ; =>This Loop Header: Depth=1
                                        ;     Child Loop BB9_9 Depth 2
                                        ;       Child Loop BB9_22 Depth 3
                                        ;       Child Loop BB9_28 Depth 3
	s_mov_b32 s1, -1
                                        ; implicit-def: $sgpr18
	s_and_saveexec_b32 s29, s0
	s_cbranch_execz .LBB9_33
; %bb.6:                                ;   in Loop: Header=BB9_5 Depth=1
	s_mul_i32 s1, s2, s13
	s_mul_hi_u32 s18, s2, s12
	s_mul_i32 s19, s3, s12
	s_add_i32 s1, s18, s1
	s_mul_i32 s18, s2, s12
	s_add_i32 s19, s1, s19
	s_mul_i32 s1, s2, s24
	s_lshl_b64 s[18:19], s[18:19], 1
	s_mul_hi_u32 s33, s2, s20
	s_add_u32 s30, s8, s18
	s_addc_u32 s31, s9, s19
	s_add_u32 s18, s30, s14
	s_addc_u32 s19, s31, s15
	s_add_i32 s1, s33, s1
	s_mul_i32 s33, s3, s20
	s_mul_i32 s34, s2, s20
	s_add_i32 s35, s1, s33
	s_mul_i32 s1, s14, s3
	s_lshl_b64 s[34:35], s[34:35], 3
	s_mul_hi_u32 s36, s14, s2
	s_add_u32 s33, s4, s34
	s_addc_u32 s34, s5, s35
	s_add_i32 s1, s36, s1
	s_mul_i32 s35, s15, s2
	v_mov_b32_e32 v11, v6
	s_add_i32 s1, s1, s35
	s_mul_i32 s35, s14, s2
	s_mov_b32 s36, 0
	s_add_u32 s35, s10, s35
	s_addc_u32 s37, s11, s1
                                        ; implicit-def: $sgpr38
                                        ; implicit-def: $sgpr39
	s_branch .LBB9_9
.LBB9_7:                                ;   in Loop: Header=BB9_9 Depth=2
	s_mov_b32 s1, -1
	s_mov_b32 s40, -1
                                        ; implicit-def: $vgpr11
                                        ; implicit-def: $vgpr10
                                        ; implicit-def: $vgpr9
                                        ; implicit-def: $vgpr8
                                        ; implicit-def: $vgpr7
                                        ; implicit-def: $vgpr14
                                        ; implicit-def: $vgpr18
                                        ; implicit-def: $vgpr3
                                        ; implicit-def: $vgpr17
.LBB9_8:                                ;   in Loop: Header=BB9_9 Depth=2
	s_delay_alu instid0(SALU_CYCLE_1) | instskip(SKIP_1) | instid1(SALU_CYCLE_1)
	s_xor_b32 s40, s40, -1
	s_and_b32 s41, exec_lo, s1
	s_or_b32 s36, s41, s36
	s_and_not1_b32 s39, s39, exec_lo
	s_and_b32 s1, s1, exec_lo
	s_and_not1_b32 s38, s38, exec_lo
	s_and_b32 s40, s40, exec_lo
	s_or_b32 s39, s39, s1
	s_or_b32 s38, s38, s40
	s_and_not1_b32 exec_lo, exec_lo, s36
	s_cbranch_execz .LBB9_32
.LBB9_9:                                ;   Parent Loop BB9_5 Depth=1
                                        ; =>  This Loop Header: Depth=2
                                        ;       Child Loop BB9_22 Depth 3
                                        ;       Child Loop BB9_28 Depth 3
	v_add_co_u32 v14, vcc_lo, v14, 1
	s_delay_alu instid0(VALU_DEP_1) | instskip(SKIP_2) | instid1(VALU_DEP_1)
	v_cndmask_b32_e64 v4, 0, 1, vcc_lo
	v_add_co_ci_u32_e32 v18, vcc_lo, 0, v18, vcc_lo
	s_mov_b32 s40, exec_lo
	v_cmp_eq_u32_e32 vcc_lo, 0, v18
	s_delay_alu instid0(VALU_DEP_3) | instskip(NEXT) | instid1(VALU_DEP_1)
	v_cndmask_b32_e32 v12, 0, v4, vcc_lo
	v_add_nc_u32_e32 v3, v12, v3
	s_delay_alu instid0(VALU_DEP_1)
	v_cmp_eq_u32_e64 s1, 0, v3
	v_cmpx_lt_i32_e32 1, v0
	s_xor_b32 s40, exec_lo, s40
	s_cbranch_execz .LBB9_15
; %bb.10:                               ;   in Loop: Header=BB9_9 Depth=2
	s_mov_b32 s41, exec_lo
	v_cmpx_lt_i32_e32 2, v0
	s_xor_b32 s41, exec_lo, s41
; %bb.11:                               ;   in Loop: Header=BB9_9 Depth=2
                                        ; implicit-def: $vgpr8
; %bb.12:                               ;   in Loop: Header=BB9_9 Depth=2
	s_delay_alu instid0(SALU_CYCLE_1)
	s_and_not1_saveexec_b32 s41, s41
; %bb.13:                               ;   in Loop: Header=BB9_9 Depth=2
	v_mov_b32_e32 v7, v8
; %bb.14:                               ;   in Loop: Header=BB9_9 Depth=2
	s_or_b32 exec_lo, exec_lo, s41
                                        ; implicit-def: $vgpr10
                                        ; implicit-def: $vgpr9
.LBB9_15:                               ;   in Loop: Header=BB9_9 Depth=2
	s_and_not1_saveexec_b32 s40, s40
	s_cbranch_execz .LBB9_19
; %bb.16:                               ;   in Loop: Header=BB9_9 Depth=2
	s_mov_b32 s41, exec_lo
	v_cmpx_eq_u32_e32 1, v0
; %bb.17:                               ;   in Loop: Header=BB9_9 Depth=2
	v_mov_b32_e32 v10, v9
; %bb.18:                               ;   in Loop: Header=BB9_9 Depth=2
	s_or_b32 exec_lo, exec_lo, s41
	s_delay_alu instid0(VALU_DEP_1)
	v_mov_b32_e32 v7, v10
.LBB9_19:                               ;   in Loop: Header=BB9_9 Depth=2
	s_or_b32 exec_lo, exec_lo, s40
	global_load_u16 v4, v5, s[18:19] offset:-2
	s_waitcnt vmcnt(0)
	v_cmp_nlt_f16_e32 vcc_lo, 0, v4
	s_cbranch_vccnz .LBB9_7
; %bb.20:                               ;   in Loop: Header=BB9_9 Depth=2
	s_and_not1_b32 vcc_lo, exec_lo, s22
	s_cbranch_vccnz .LBB9_24
; %bb.21:                               ;   in Loop: Header=BB9_9 Depth=2
	v_cvt_f32_u32_e32 v7, v7
	v_dual_mov_b32 v4, s12 :: v_dual_mov_b32 v13, 0
	v_mov_b32_e32 v8, s12
	s_mov_b32 s40, 0
	s_delay_alu instid0(VALU_DEP_3)
	v_fma_mixlo_f16 v7, v7, s27, s27
	.p2align	6
.LBB9_22:                               ;   Parent Loop BB9_5 Depth=1
                                        ;     Parent Loop BB9_9 Depth=2
                                        ; =>    This Inner Loop Header: Depth=3
	s_delay_alu instid0(VALU_DEP_3) | instskip(NEXT) | instid1(VALU_DEP_1)
	v_lshrrev_b32_e32 v4, 1, v4
	v_add_nc_u32_e32 v4, v4, v13
	s_delay_alu instid0(VALU_DEP_1) | instskip(NEXT) | instid1(VALU_DEP_1)
	v_lshlrev_b64 v[9:10], 1, v[4:5]
	v_add_co_u32 v9, vcc_lo, s30, v9
	s_delay_alu instid0(VALU_DEP_2) | instskip(SKIP_4) | instid1(VALU_DEP_2)
	v_add_co_ci_u32_e32 v10, vcc_lo, s31, v10, vcc_lo
	global_load_u16 v9, v[9:10], off
	v_add_nc_u32_e32 v10, 1, v4
	s_waitcnt vmcnt(0)
	v_cmp_lt_f16_e32 vcc_lo, v9, v7
	v_dual_cndmask_b32 v13, v13, v10 :: v_dual_cndmask_b32 v8, v4, v8
	s_delay_alu instid0(VALU_DEP_1) | instskip(NEXT) | instid1(VALU_DEP_1)
	v_sub_nc_u32_e32 v4, v8, v13
	v_cmp_gt_i32_e32 vcc_lo, 1, v4
	s_or_b32 s40, vcc_lo, s40
	s_delay_alu instid0(SALU_CYCLE_1)
	s_and_not1_b32 exec_lo, exec_lo, s40
	s_cbranch_execnz .LBB9_22
; %bb.23:                               ;   in Loop: Header=BB9_9 Depth=2
	s_or_b32 exec_lo, exec_lo, s40
	s_branch .LBB9_25
.LBB9_24:                               ;   in Loop: Header=BB9_9 Depth=2
	v_mov_b32_e32 v13, 0
.LBB9_25:                               ;   in Loop: Header=BB9_9 Depth=2
	v_mad_u64_u32 v[7:8], null, 0xd2511f53, v14, 0
	v_cndmask_b32_e64 v4, 0, v12, s1
	v_mad_u64_u32 v[9:10], null, 0xcd9e8d57, v3, 0
	s_delay_alu instid0(VALU_DEP_4) | instskip(SKIP_1) | instid1(VALU_DEP_3)
	v_cmp_eq_u32_e32 vcc_lo, s12, v13
	s_mov_b32 s40, exec_lo
	v_add_nc_u32_e32 v17, v4, v17
	v_xor_b32_e32 v4, v8, v2
	s_delay_alu instid0(VALU_DEP_4) | instskip(NEXT) | instid1(VALU_DEP_2)
	v_xor3_b32 v8, v10, v1, v18
	v_xor_b32_e32 v4, v17, v4
	s_delay_alu instid0(VALU_DEP_2) | instskip(NEXT) | instid1(VALU_DEP_2)
	v_mad_u64_u32 v[37:38], null, 0xd2511f53, v8, 0
	v_mad_u64_u32 v[35:36], null, 0xcd9e8d57, v4, 0
	s_delay_alu instid0(VALU_DEP_2) | instskip(NEXT) | instid1(VALU_DEP_2)
	v_xor3_b32 v12, v16, v38, v7
	v_xor3_b32 v4, v15, v36, v9
	s_delay_alu instid0(VALU_DEP_2) | instskip(NEXT) | instid1(VALU_DEP_2)
	v_mad_u64_u32 v[9:10], null, 0xcd9e8d57, v12, 0
	v_mad_u64_u32 v[7:8], null, 0xd2511f53, v4, 0
	s_delay_alu instid0(VALU_DEP_1) | instskip(NEXT) | instid1(VALU_DEP_3)
	v_xor3_b32 v4, v19, v8, v37
	v_xor3_b32 v8, v20, v10, v35
	s_delay_alu instid0(VALU_DEP_2) | instskip(NEXT) | instid1(VALU_DEP_2)
	v_mad_u64_u32 v[35:36], null, 0xcd9e8d57, v4, 0
	v_mad_u64_u32 v[37:38], null, 0xd2511f53, v8, 0
	s_delay_alu instid0(VALU_DEP_2) | instskip(NEXT) | instid1(VALU_DEP_2)
	v_xor3_b32 v4, v21, v36, v9
	v_xor3_b32 v12, v22, v38, v7
	s_delay_alu instid0(VALU_DEP_2) | instskip(NEXT) | instid1(VALU_DEP_2)
	v_mad_u64_u32 v[7:8], null, 0xd2511f53, v4, 0
	v_mad_u64_u32 v[9:10], null, 0xcd9e8d57, v12, 0
	s_delay_alu instid0(VALU_DEP_2) | instskip(NEXT) | instid1(VALU_DEP_2)
	;; [unrolled: 6-line block ×6, first 2 shown]
	v_xor3_b32 v4, v31, v39, v37
	v_xor3_b32 v12, v32, v41, v35
	s_delay_alu instid0(VALU_DEP_2) | instskip(NEXT) | instid1(VALU_DEP_2)
	v_mad_u64_u32 v[9:10], null, 0xcd9e8d57, v4, 0
	v_mad_u64_u32 v[7:8], null, 0xd2511f53, v12, 0
	v_cndmask_b32_e64 v4, v13, s23, vcc_lo
	s_delay_alu instid0(VALU_DEP_3) | instskip(NEXT) | instid1(VALU_DEP_3)
	v_xor3_b32 v10, v10, v40, v33
	v_xor3_b32 v8, v8, v38, v34
	s_delay_alu instid0(VALU_DEP_3)
	v_cmpx_lt_i32_e32 0, v4
	s_cbranch_execz .LBB9_31
; %bb.26:                               ;   in Loop: Header=BB9_9 Depth=2
	v_lshlrev_b64 v[12:13], 1, v[4:5]
	s_mov_b32 s41, 0
                                        ; implicit-def: $sgpr42
	s_delay_alu instid0(VALU_DEP_1) | instskip(NEXT) | instid1(VALU_DEP_2)
	v_add_co_u32 v12, vcc_lo, s35, v12
	v_add_co_ci_u32_e32 v13, vcc_lo, s37, v13, vcc_lo
	s_branch .LBB9_28
	.p2align	6
.LBB9_27:                               ;   in Loop: Header=BB9_28 Depth=3
	s_or_b32 exec_lo, exec_lo, s43
	v_mov_b32_e32 v36, v4
	v_mov_b32_e32 v4, v35
	s_and_b32 s1, exec_lo, s42
	s_delay_alu instid0(SALU_CYCLE_1) | instskip(NEXT) | instid1(SALU_CYCLE_1)
	s_or_b32 s41, s1, s41
	s_and_not1_b32 exec_lo, exec_lo, s41
	s_cbranch_execz .LBB9_30
.LBB9_28:                               ;   Parent Loop BB9_5 Depth=1
                                        ;     Parent Loop BB9_9 Depth=2
                                        ; =>    This Inner Loop Header: Depth=3
	global_load_u16 v35, v[12:13], off
	s_or_b32 s42, s42, exec_lo
	s_waitcnt vmcnt(0)
	v_cmp_eq_f16_e32 vcc_lo, 0, v35
                                        ; implicit-def: $vgpr35
	s_and_saveexec_b32 s43, vcc_lo
	s_cbranch_execz .LBB9_27
; %bb.29:                               ;   in Loop: Header=BB9_28 Depth=3
	v_cmp_gt_u32_e32 vcc_lo, 2, v4
	v_add_co_u32 v12, s1, v12, -2
	v_dual_mov_b32 v4, 0 :: v_dual_add_nc_u32 v35, -1, v4
	v_add_co_ci_u32_e64 v13, s1, -1, v13, s1
	s_and_not1_b32 s1, s42, exec_lo
	s_and_b32 s42, vcc_lo, exec_lo
	s_delay_alu instid0(SALU_CYCLE_1)
	s_or_b32 s42, s1, s42
	s_branch .LBB9_27
.LBB9_30:                               ;   in Loop: Header=BB9_9 Depth=2
	s_or_b32 exec_lo, exec_lo, s41
	v_mov_b32_e32 v4, v36
.LBB9_31:                               ;   in Loop: Header=BB9_9 Depth=2
	s_or_b32 exec_lo, exec_lo, s40
	v_ashrrev_i32_e32 v12, 31, v11
	s_delay_alu instid0(VALU_DEP_2) | instskip(SKIP_2) | instid1(VALU_DEP_3)
	v_ashrrev_i32_e32 v36, 31, v4
	v_mov_b32_e32 v35, v4
	s_mov_b32 s40, 0
	v_lshlrev_b64 v[12:13], 3, v[11:12]
	v_add_nc_u32_e32 v11, s25, v11
	s_delay_alu instid0(VALU_DEP_1) | instskip(NEXT) | instid1(VALU_DEP_3)
	v_cmp_le_i32_e64 s1, s20, v11
	v_add_co_u32 v12, vcc_lo, s33, v12
	s_delay_alu instid0(VALU_DEP_4)
	v_add_co_ci_u32_e32 v13, vcc_lo, s34, v13, vcc_lo
	global_store_b64 v[12:13], v[35:36], off
	s_branch .LBB9_8
.LBB9_32:                               ;   in Loop: Header=BB9_5 Depth=1
	s_or_b32 exec_lo, exec_lo, s36
	s_delay_alu instid0(SALU_CYCLE_1)
	s_and_b32 s18, s39, exec_lo
	s_or_not1_b32 s1, s38, exec_lo
.LBB9_33:                               ;   in Loop: Header=BB9_5 Depth=1
	s_or_b32 exec_lo, exec_lo, s29
	s_delay_alu instid0(SALU_CYCLE_1)
	s_and_not1_b32 s19, s28, exec_lo
	s_and_b32 s28, s18, exec_lo
	s_mov_b32 s18, -1
	s_or_b32 s28, s19, s28
	s_and_saveexec_b32 s19, s1
	s_cbranch_execz .LBB9_4
; %bb.34:                               ;   in Loop: Header=BB9_5 Depth=1
	s_load_b32 s1, s[16:17], 0x4
	s_waitcnt lgkmcnt(0)
	s_add_u32 s2, s2, s1
	s_addc_u32 s3, s3, 0
	s_and_not1_b32 s28, s28, exec_lo
	v_cmp_ge_i64_e64 s1, s[2:3], s[6:7]
	s_delay_alu instid0(VALU_DEP_1)
	s_or_not1_b32 s18, s1, exec_lo
	s_branch .LBB9_4
.LBB9_35:
	s_or_b32 exec_lo, exec_lo, s21
	s_and_saveexec_b32 s0, s26
	s_delay_alu instid0(SALU_CYCLE_1)
	s_xor_b32 s0, exec_lo, s0
	s_cbranch_execnz .LBB9_37
.LBB9_36:
	s_nop 0
	s_sendmsg sendmsg(MSG_DEALLOC_VGPRS)
	s_endpgm
.LBB9_37:
	s_cbranch_execnz .LBB9_39
; %bb.38:
	; divergent unreachable
	s_nop 0
	s_sendmsg sendmsg(MSG_DEALLOC_VGPRS)
	s_endpgm
.LBB9_39:
	s_trap 2
	s_sendmsg_rtn_b32 s0, sendmsg(MSG_RTN_GET_DOORBELL)
	s_mov_b32 ttmp2, m0
	s_waitcnt lgkmcnt(0)
	s_and_b32 s0, s0, 0x3ff
	s_delay_alu instid0(SALU_CYCLE_1) | instskip(NEXT) | instid1(SALU_CYCLE_1)
	s_bitset1_b32 s0, 10
	s_mov_b32 m0, s0
	s_sendmsg sendmsg(MSG_INTERRUPT)
	s_mov_b32 m0, ttmp2
.LBB9_40:                               ; =>This Inner Loop Header: Depth=1
	s_sethalt 5
	s_branch .LBB9_40
	.section	.rodata,"a",@progbits
	.p2align	6, 0x0
	.amdhsa_kernel _ZN2at6native12_GLOBAL__N_132sampleMultinomialWithReplacementIN3c104HalfEEEvNS_15PhiloxCudaStateEiPlliPKT_S9_
		.amdhsa_group_segment_fixed_size 0
		.amdhsa_private_segment_fixed_size 0
		.amdhsa_kernarg_size 336
		.amdhsa_user_sgpr_count 14
		.amdhsa_user_sgpr_dispatch_ptr 0
		.amdhsa_user_sgpr_queue_ptr 0
		.amdhsa_user_sgpr_kernarg_segment_ptr 1
		.amdhsa_user_sgpr_dispatch_id 0
		.amdhsa_user_sgpr_private_segment_size 0
		.amdhsa_wavefront_size32 1
		.amdhsa_uses_dynamic_stack 0
		.amdhsa_enable_private_segment 0
		.amdhsa_system_sgpr_workgroup_id_x 1
		.amdhsa_system_sgpr_workgroup_id_y 1
		.amdhsa_system_sgpr_workgroup_id_z 0
		.amdhsa_system_sgpr_workgroup_info 0
		.amdhsa_system_vgpr_workitem_id 0
		.amdhsa_next_free_vgpr 42
		.amdhsa_next_free_sgpr 44
		.amdhsa_reserve_vcc 1
		.amdhsa_float_round_mode_32 0
		.amdhsa_float_round_mode_16_64 0
		.amdhsa_float_denorm_mode_32 3
		.amdhsa_float_denorm_mode_16_64 3
		.amdhsa_dx10_clamp 1
		.amdhsa_ieee_mode 1
		.amdhsa_fp16_overflow 0
		.amdhsa_workgroup_processor_mode 1
		.amdhsa_memory_ordered 1
		.amdhsa_forward_progress 0
		.amdhsa_shared_vgpr_count 0
		.amdhsa_exception_fp_ieee_invalid_op 0
		.amdhsa_exception_fp_denorm_src 0
		.amdhsa_exception_fp_ieee_div_zero 0
		.amdhsa_exception_fp_ieee_overflow 0
		.amdhsa_exception_fp_ieee_underflow 0
		.amdhsa_exception_fp_ieee_inexact 0
		.amdhsa_exception_int_div_zero 0
	.end_amdhsa_kernel
	.section	.text._ZN2at6native12_GLOBAL__N_132sampleMultinomialWithReplacementIN3c104HalfEEEvNS_15PhiloxCudaStateEiPlliPKT_S9_,"axG",@progbits,_ZN2at6native12_GLOBAL__N_132sampleMultinomialWithReplacementIN3c104HalfEEEvNS_15PhiloxCudaStateEiPlliPKT_S9_,comdat
.Lfunc_end9:
	.size	_ZN2at6native12_GLOBAL__N_132sampleMultinomialWithReplacementIN3c104HalfEEEvNS_15PhiloxCudaStateEiPlliPKT_S9_, .Lfunc_end9-_ZN2at6native12_GLOBAL__N_132sampleMultinomialWithReplacementIN3c104HalfEEEvNS_15PhiloxCudaStateEiPlliPKT_S9_
                                        ; -- End function
	.section	.AMDGPU.csdata,"",@progbits
; Kernel info:
; codeLenInByte = 2476
; NumSgprs: 46
; NumVgprs: 42
; ScratchSize: 0
; MemoryBound: 0
; FloatMode: 240
; IeeeMode: 1
; LDSByteSize: 0 bytes/workgroup (compile time only)
; SGPRBlocks: 5
; VGPRBlocks: 5
; NumSGPRsForWavesPerEU: 46
; NumVGPRsForWavesPerEU: 42
; Occupancy: 16
; WaveLimiterHint : 0
; COMPUTE_PGM_RSRC2:SCRATCH_EN: 0
; COMPUTE_PGM_RSRC2:USER_SGPR: 14
; COMPUTE_PGM_RSRC2:TRAP_HANDLER: 0
; COMPUTE_PGM_RSRC2:TGID_X_EN: 1
; COMPUTE_PGM_RSRC2:TGID_Y_EN: 1
; COMPUTE_PGM_RSRC2:TGID_Z_EN: 0
; COMPUTE_PGM_RSRC2:TIDIG_COMP_CNT: 0
	.section	.text._ZN2at6native12_GLOBAL__N_121sampleMultinomialOnceIN3c108BFloat16EfEEvPlliPKT_S8_ii,"axG",@progbits,_ZN2at6native12_GLOBAL__N_121sampleMultinomialOnceIN3c108BFloat16EfEEvPlliPKT_S8_ii,comdat
	.globl	_ZN2at6native12_GLOBAL__N_121sampleMultinomialOnceIN3c108BFloat16EfEEvPlliPKT_S8_ii ; -- Begin function _ZN2at6native12_GLOBAL__N_121sampleMultinomialOnceIN3c108BFloat16EfEEvPlliPKT_S8_ii
	.p2align	8
	.type	_ZN2at6native12_GLOBAL__N_121sampleMultinomialOnceIN3c108BFloat16EfEEvPlliPKT_S8_ii,@function
_ZN2at6native12_GLOBAL__N_121sampleMultinomialOnceIN3c108BFloat16EfEEvPlliPKT_S8_ii: ; @_ZN2at6native12_GLOBAL__N_121sampleMultinomialOnceIN3c108BFloat16EfEEvPlliPKT_S8_ii
; %bb.0:
	s_load_b128 s[8:11], s[0:1], 0x0
	s_mov_b32 s16, s15
	s_mov_b32 s17, 0
	s_waitcnt lgkmcnt(0)
	v_cmp_ge_i64_e64 s2, s[16:17], s[10:11]
	s_delay_alu instid0(VALU_DEP_1)
	s_and_b32 vcc_lo, exec_lo, s2
	s_cbranch_vccnz .LBB10_90
; %bb.1:
	s_clause 0x2
	s_load_b64 s[18:19], s[0:1], 0x28
	s_load_b32 s7, s[0:1], 0x10
	s_load_b128 s[12:15], s[0:1], 0x18
	v_lshrrev_b32_e32 v4, 3, v0
	v_dual_mov_b32 v2, 0 :: v_dual_and_b32 v1, 31, v0
	v_dual_mov_b32 v14, 1 :: v_dual_lshlrev_b32 v5, 2, v0
	s_delay_alu instid0(VALU_DEP_3)
	v_add_nc_u32_e32 v12, 8, v4
	v_cmp_gt_u32_e64 s2, 32, v0
	v_cmp_eq_u32_e64 s3, 0, v0
	v_cmp_ne_u32_e64 s4, 0, v0
	v_mbcnt_lo_u32_b32 v8, -1, 0
	v_cmp_eq_u32_e64 s5, 0, v1
	v_lshl_add_u32 v9, v1, 2, 8
	v_dual_mov_b32 v13, 8 :: v_dual_add_nc_u32 v10, 8, v5
	v_add3_u32 v11, 8, -4, v5
	s_mov_b64 s[22:23], s[16:17]
                                        ; implicit-def: $sgpr27
                                        ; implicit-def: $sgpr29
                                        ; implicit-def: $sgpr28
                                        ; implicit-def: $sgpr30
                                        ; implicit-def: $sgpr16
                                        ; implicit-def: $sgpr31
                                        ; implicit-def: $sgpr35
                                        ; implicit-def: $sgpr33
                                        ; implicit-def: $sgpr36
                                        ; implicit-def: $sgpr34
                                        ; implicit-def: $vgpr15
	s_waitcnt lgkmcnt(0)
	v_mul_lo_u32 v3, v0, s19
	s_ashr_i32 s24, s18, 31
	v_cmp_gt_i32_e64 s6, s7, v0
	s_add_u32 s20, s0, 48
	s_addc_u32 s21, s1, 0
	s_add_i32 s25, s7, -1
	s_delay_alu instid0(SALU_CYCLE_1) | instskip(NEXT) | instid1(VALU_DEP_2)
	s_mul_i32 s26, s19, s25
	v_ashrrev_i32_e32 v4, 31, v3
	s_delay_alu instid0(VALU_DEP_1)
	v_lshlrev_b64 v[3:4], 1, v[3:4]
	s_branch .LBB10_5
.LBB10_2:                               ;   in Loop: Header=BB10_5 Depth=1
	s_or_b32 exec_lo, exec_lo, s1
	s_add_u32 s22, s22, s38
	s_addc_u32 s23, s23, 0
	s_and_not1_b32 s41, s41, exec_lo
	v_cmp_ge_i64_e64 s0, s[22:23], s[10:11]
	s_and_not1_b32 s40, s40, exec_lo
	s_and_not1_b32 s39, s39, exec_lo
	;; [unrolled: 1-line block ×4, first 2 shown]
	s_delay_alu instid0(VALU_DEP_1)
	s_or_not1_b32 s1, s0, exec_lo
.LBB10_3:                               ;   in Loop: Header=BB10_5 Depth=1
	s_or_b32 exec_lo, exec_lo, s44
	s_delay_alu instid0(SALU_CYCLE_1)
	s_and_not1_b32 s0, s34, exec_lo
	s_and_b32 s34, s41, exec_lo
	s_and_not1_b32 s33, s33, exec_lo
	s_or_b32 s34, s0, s34
	s_and_not1_b32 s0, s36, exec_lo
	s_and_b32 s36, s40, exec_lo
	s_and_b32 s38, s39, exec_lo
	s_or_b32 s36, s0, s36
	s_or_b32 s33, s33, s38
	s_and_not1_b32 s0, s35, exec_lo
	s_and_b32 s35, s43, exec_lo
	s_and_not1_b32 s31, s31, exec_lo
	s_and_b32 s38, s42, exec_lo
	s_or_b32 s35, s0, s35
	s_or_b32 s31, s31, s38
	s_or_not1_b32 s0, s1, exec_lo
.LBB10_4:                               ;   in Loop: Header=BB10_5 Depth=1
	s_or_b32 exec_lo, exec_lo, s37
	s_delay_alu instid0(SALU_CYCLE_1) | instskip(NEXT) | instid1(SALU_CYCLE_1)
	s_and_b32 s0, exec_lo, s0
	s_or_b32 s17, s0, s17
	s_and_not1_b32 s0, s16, exec_lo
	s_and_b32 s1, s34, exec_lo
	s_and_not1_b32 s30, s30, exec_lo
	s_or_b32 s16, s0, s1
	s_and_b32 s0, s36, exec_lo
	s_and_not1_b32 s1, s28, exec_lo
	s_and_b32 s28, s33, exec_lo
	s_or_b32 s30, s30, s0
	s_or_b32 s28, s1, s28
	s_and_not1_b32 s0, s29, exec_lo
	s_and_b32 s1, s35, exec_lo
	s_and_not1_b32 s27, s27, exec_lo
	s_and_b32 s37, s31, exec_lo
	s_or_b32 s29, s0, s1
	s_or_b32 s27, s27, s37
	s_and_not1_b32 exec_lo, exec_lo, s17
	s_cbranch_execz .LBB10_75
.LBB10_5:                               ; =>This Loop Header: Depth=1
                                        ;     Child Loop BB10_14 Depth 2
                                        ;     Child Loop BB10_42 Depth 2
                                        ;       Child Loop BB10_47 Depth 3
                                        ;       Child Loop BB10_57 Depth 3
                                        ;     Child Loop BB10_64 Depth 2
	s_waitcnt lgkmcnt(0)
	v_mov_b32_e32 v1, 0
	s_mov_b32 s1, -1
                                        ; implicit-def: $sgpr37
                                        ; implicit-def: $sgpr38
                                        ; implicit-def: $sgpr39
                                        ; implicit-def: $sgpr41
	s_and_saveexec_b32 s0, s6
	s_cbranch_execz .LBB10_23
; %bb.6:                                ;   in Loop: Header=BB10_5 Depth=1
	s_mul_i32 s1, s22, s24
	s_mul_hi_u32 s37, s22, s18
	s_mul_i32 s38, s22, s18
	s_add_i32 s1, s37, s1
	s_mul_i32 s37, s23, s18
	v_mov_b32_e32 v1, 0
	s_add_i32 s39, s1, s37
	s_mov_b32 s37, -1
	s_lshl_b64 s[38:39], s[38:39], 1
	s_mov_b32 s40, 0
	s_add_u32 s38, s14, s38
	s_addc_u32 s39, s15, s39
	v_add_co_u32 v5, vcc_lo, s38, v3
	v_add_co_ci_u32_e32 v6, vcc_lo, s39, v4, vcc_lo
	s_mov_b32 s43, 0
	s_mov_b32 s44, 0
	;; [unrolled: 1-line block ×3, first 2 shown]
	global_load_u16 v15, v[5:6], off
	s_mov_b32 s1, exec_lo
	s_waitcnt vmcnt(0)
	v_lshlrev_b32_e32 v5, 16, v15
	s_delay_alu instid0(VALU_DEP_1)
	v_cmpx_o_f32_e32 v5, v5
	s_cbranch_execz .LBB10_22
; %bb.7:                                ;   in Loop: Header=BB10_5 Depth=1
	v_mov_b32_e32 v1, 0
	s_mov_b32 s40, -1
	s_mov_b32 s41, 0
	s_mov_b32 s42, 0
	;; [unrolled: 1-line block ×3, first 2 shown]
	s_mov_b32 s37, exec_lo
	v_cmpx_neq_f32_e64 0x7f800000, |v5|
	s_cbranch_execz .LBB10_21
; %bb.8:                                ;   in Loop: Header=BB10_5 Depth=1
	v_mov_b32_e32 v1, 0
	s_mov_b32 s42, -1
	s_mov_b32 s40, exec_lo
	v_cmpx_ngt_f32_e32 0, v5
	s_cbranch_execz .LBB10_20
; %bb.9:                                ;   in Loop: Header=BB10_5 Depth=1
	s_load_b32 s41, s[20:21], 0xc
	v_add_f32_e32 v1, 0, v5
	s_mov_b32 s43, -1
	s_mov_b32 s47, -1
	s_mov_b32 s49, 0
	s_waitcnt lgkmcnt(0)
	s_and_b32 s42, s41, 0xffff
	s_mov_b32 s41, exec_lo
	v_add_nc_u32_e32 v7, s42, v0
	s_delay_alu instid0(VALU_DEP_1)
	v_cmpx_gt_i32_e64 s7, v7
	s_cbranch_execz .LBB10_19
; %bb.10:                               ;   in Loop: Header=BB10_5 Depth=1
	v_mul_lo_u32 v5, s19, v7
	s_mul_i32 s45, s19, s42
                                        ; implicit-def: $sgpr43
                                        ; implicit-def: $sgpr49
                                        ; implicit-def: $sgpr47
                                        ; implicit-def: $sgpr48
                                        ; implicit-def: $sgpr46
                                        ; implicit-def: $sgpr50
                                        ; implicit-def: $sgpr52
                                        ; implicit-def: $sgpr51
                                        ; implicit-def: $sgpr54
                                        ; implicit-def: $sgpr53
                                        ; implicit-def: $sgpr55
	s_branch .LBB10_14
.LBB10_11:                              ;   in Loop: Header=BB10_14 Depth=2
	s_or_b32 exec_lo, exec_lo, s59
	s_delay_alu instid0(SALU_CYCLE_1)
	s_mov_b32 s59, exec_lo
	s_or_not1_b32 s62, s61, exec_lo
	s_xor_b32 s61, exec_lo, -1
	s_or_not1_b32 s60, s60, exec_lo
.LBB10_12:                              ;   in Loop: Header=BB10_14 Depth=2
	s_or_b32 exec_lo, exec_lo, s58
	s_delay_alu instid0(SALU_CYCLE_1)
	s_and_not1_b32 s55, s55, exec_lo
	s_and_b32 s58, s62, exec_lo
	s_and_not1_b32 s54, s54, exec_lo
	s_or_b32 s55, s55, s58
	s_and_b32 s58, s61, exec_lo
	s_and_not1_b32 s53, s53, exec_lo
	s_and_b32 s57, s57, exec_lo
	s_and_not1_b32 s51, s51, exec_lo
	s_and_b32 s59, s59, exec_lo
	s_or_b32 s54, s54, s58
	s_and_not1_b32 s52, s52, exec_lo
	s_and_not1_b32 s50, s50, exec_lo
	s_and_b32 s58, s60, exec_lo
	s_or_b32 s53, s53, s57
	s_or_b32 s51, s51, s59
	;; [unrolled: 1-line block ×4, first 2 shown]
.LBB10_13:                              ;   in Loop: Header=BB10_14 Depth=2
	s_or_b32 exec_lo, exec_lo, s56
	s_xor_b32 s56, s55, -1
	s_and_b32 s57, exec_lo, s50
	s_delay_alu instid0(SALU_CYCLE_1)
	s_or_b32 s44, s57, s44
	s_and_not1_b32 s46, s46, exec_lo
	s_and_b32 s57, s53, exec_lo
	s_and_not1_b32 s48, s48, exec_lo
	s_or_b32 s46, s46, s57
	s_and_b32 s57, s54, exec_lo
	s_and_not1_b32 s47, s47, exec_lo
	s_and_b32 s58, s51, exec_lo
	s_or_b32 s48, s48, s57
	s_and_not1_b32 s49, s49, exec_lo
	s_and_b32 s57, s52, exec_lo
	s_and_not1_b32 s43, s43, exec_lo
	s_and_b32 s56, s56, exec_lo
	s_or_b32 s47, s47, s58
	s_or_b32 s49, s49, s57
	;; [unrolled: 1-line block ×3, first 2 shown]
	s_and_not1_b32 exec_lo, exec_lo, s44
	s_cbranch_execz .LBB10_18
.LBB10_14:                              ;   Parent Loop BB10_5 Depth=1
                                        ; =>  This Inner Loop Header: Depth=2
	s_delay_alu instid0(VALU_DEP_1)
	v_ashrrev_i32_e32 v6, 31, v5
	s_or_b32 s55, s55, exec_lo
	s_or_b32 s53, s53, exec_lo
	s_and_not1_b32 s54, s54, exec_lo
	s_and_not1_b32 s51, s51, exec_lo
	v_lshlrev_b64 v[15:16], 1, v[5:6]
	s_and_not1_b32 s52, s52, exec_lo
	s_or_b32 s50, s50, exec_lo
	s_mov_b32 s56, exec_lo
	s_delay_alu instid0(VALU_DEP_1) | instskip(NEXT) | instid1(VALU_DEP_2)
	v_add_co_u32 v15, vcc_lo, s38, v15
	v_add_co_ci_u32_e32 v16, vcc_lo, s39, v16, vcc_lo
	global_load_u16 v15, v[15:16], off
	s_waitcnt vmcnt(0)
	v_lshlrev_b32_e32 v6, 16, v15
	s_delay_alu instid0(VALU_DEP_1)
	v_cmpx_o_f32_e32 v6, v6
	s_cbranch_execz .LBB10_13
; %bb.15:                               ;   in Loop: Header=BB10_14 Depth=2
	s_mov_b32 s57, 0
	s_mov_b32 s60, -1
	s_mov_b32 s59, 0
	s_mov_b32 s61, -1
	s_mov_b32 s62, -1
	s_mov_b32 s58, exec_lo
	v_cmpx_neq_f32_e64 0x7f800000, |v6|
	s_cbranch_execz .LBB10_12
; %bb.16:                               ;   in Loop: Header=BB10_14 Depth=2
	s_mov_b32 s59, exec_lo
	v_cmpx_ngt_f32_e32 0, v6
	s_cbranch_execz .LBB10_11
; %bb.17:                               ;   in Loop: Header=BB10_14 Depth=2
	v_add_nc_u32_e32 v7, s42, v7
	v_add_f32_e32 v1, v1, v6
	v_add_nc_u32_e32 v5, s45, v5
	s_xor_b32 s61, exec_lo, -1
	s_delay_alu instid0(VALU_DEP_3)
	v_cmp_le_i32_e32 vcc_lo, s7, v7
	s_or_not1_b32 s60, vcc_lo, exec_lo
	s_branch .LBB10_11
.LBB10_18:                              ;   in Loop: Header=BB10_5 Depth=1
	s_or_b32 exec_lo, exec_lo, s44
	s_delay_alu instid0(SALU_CYCLE_1)
	s_and_b32 s49, s49, exec_lo
	s_or_not1_b32 s47, s47, exec_lo
	s_and_b32 s45, s48, exec_lo
	s_and_b32 s44, s46, exec_lo
	s_or_not1_b32 s43, s43, exec_lo
.LBB10_19:                              ;   in Loop: Header=BB10_5 Depth=1
	s_or_b32 exec_lo, exec_lo, s41
	s_delay_alu instid0(SALU_CYCLE_1)
	s_and_b32 s46, s49, exec_lo
	s_or_not1_b32 s42, s47, exec_lo
	s_and_b32 s45, s45, exec_lo
	s_and_b32 s44, s44, exec_lo
	;; [unrolled: 1-line block ×3, first 2 shown]
.LBB10_20:                              ;   in Loop: Header=BB10_5 Depth=1
	s_or_b32 exec_lo, exec_lo, s40
	s_delay_alu instid0(SALU_CYCLE_1)
	s_and_b32 s46, s46, exec_lo
	s_and_b32 s43, s42, exec_lo
	s_or_not1_b32 s40, s45, exec_lo
	s_and_b32 s42, s44, exec_lo
	s_and_b32 s41, s41, exec_lo
.LBB10_21:                              ;   in Loop: Header=BB10_5 Depth=1
	s_or_b32 exec_lo, exec_lo, s37
	s_delay_alu instid0(SALU_CYCLE_1)
	s_and_b32 s45, s46, exec_lo
	s_and_b32 s44, s43, exec_lo
	;; [unrolled: 1-line block ×3, first 2 shown]
	s_or_not1_b32 s37, s42, exec_lo
	s_and_b32 s40, s41, exec_lo
.LBB10_22:                              ;   in Loop: Header=BB10_5 Depth=1
	s_or_b32 exec_lo, exec_lo, s1
	s_delay_alu instid0(SALU_CYCLE_1)
	s_and_b32 s41, s45, exec_lo
	s_and_b32 s39, s44, exec_lo
	;; [unrolled: 1-line block ×4, first 2 shown]
	s_or_not1_b32 s1, s40, exec_lo
.LBB10_23:                              ;   in Loop: Header=BB10_5 Depth=1
	s_or_b32 exec_lo, exec_lo, s0
	s_delay_alu instid0(SALU_CYCLE_1)
	s_and_not1_b32 s34, s34, exec_lo
	s_and_b32 s40, s41, exec_lo
	s_and_not1_b32 s36, s36, exec_lo
	s_and_not1_b32 s33, s33, exec_lo
	s_and_b32 s39, s39, exec_lo
	s_and_not1_b32 s35, s35, exec_lo
	s_and_b32 s38, s38, exec_lo
	;; [unrolled: 2-line block ×3, first 2 shown]
	s_mov_b32 s0, -1
	s_or_b32 s34, s34, s40
	s_or_b32 s36, s36, s40
	;; [unrolled: 1-line block ×5, first 2 shown]
	s_and_saveexec_b32 s37, s1
	s_cbranch_execz .LBB10_4
; %bb.24:                               ;   in Loop: Header=BB10_5 Depth=1
	v_cmp_gt_u32_e32 vcc_lo, 16, v8
	s_waitcnt_vscnt null, 0x0
	s_barrier
	buffer_gl0_inv
	v_cndmask_b32_e64 v5, 0, 1, vcc_lo
	v_cmp_gt_u32_e32 vcc_lo, 24, v8
	s_delay_alu instid0(VALU_DEP_2) | instskip(SKIP_2) | instid1(VALU_DEP_3)
	v_lshlrev_b32_e32 v5, 4, v5
	v_cndmask_b32_e64 v6, 0, 1, vcc_lo
	v_cmp_gt_u32_e32 vcc_lo, 28, v8
	v_add_lshl_u32 v5, v5, v8, 2
	ds_bpermute_b32 v7, v5, v1
	s_waitcnt lgkmcnt(0)
	v_dual_add_f32 v1, v1, v7 :: v_dual_lshlrev_b32 v6, 3, v6
	s_delay_alu instid0(VALU_DEP_1) | instskip(SKIP_4) | instid1(VALU_DEP_1)
	v_add_lshl_u32 v6, v6, v8, 2
	v_cndmask_b32_e64 v7, 0, 1, vcc_lo
	v_cmp_gt_u32_e32 vcc_lo, 30, v8
	ds_bpermute_b32 v16, v6, v1
	v_lshlrev_b32_e32 v7, 2, v7
	v_add_lshl_u32 v7, v7, v8, 2
	s_waitcnt lgkmcnt(0)
	v_add_f32_e32 v1, v1, v16
	v_cndmask_b32_e64 v16, 0, 1, vcc_lo
	v_cmp_ne_u32_e32 vcc_lo, 31, v8
	ds_bpermute_b32 v17, v7, v1
	v_lshlrev_b32_e32 v16, 1, v16
	v_add_co_ci_u32_e32 v18, vcc_lo, 0, v8, vcc_lo
	s_waitcnt lgkmcnt(0)
	v_add_f32_e32 v1, v1, v17
	s_delay_alu instid0(VALU_DEP_3)
	v_add_lshl_u32 v16, v16, v8, 2
	ds_bpermute_b32 v17, v16, v1
	s_waitcnt lgkmcnt(0)
	v_add_f32_e32 v1, v1, v17
	v_lshlrev_b32_e32 v17, 2, v18
	ds_bpermute_b32 v18, v17, v1
	s_and_saveexec_b32 s0, s5
	s_cbranch_execz .LBB10_26
; %bb.25:                               ;   in Loop: Header=BB10_5 Depth=1
	s_waitcnt lgkmcnt(0)
	v_add_f32_e32 v1, v1, v18
	ds_store_b32 v12, v1
.LBB10_26:                              ;   in Loop: Header=BB10_5 Depth=1
	s_or_b32 exec_lo, exec_lo, s0
	s_waitcnt lgkmcnt(0)
	s_barrier
	buffer_gl0_inv
	s_clause 0x1
	s_load_b32 s0, s[20:21], 0xc
	s_load_b32 s38, s[20:21], 0x0
	v_mov_b32_e32 v1, 0
	s_waitcnt lgkmcnt(0)
	s_bfe_u32 s1, s0, 0xb0005
	s_delay_alu instid0(SALU_CYCLE_1)
	v_cmp_gt_u32_e32 vcc_lo, s1, v0
	s_and_saveexec_b32 s1, vcc_lo
	s_cbranch_execz .LBB10_28
; %bb.27:                               ;   in Loop: Header=BB10_5 Depth=1
	ds_load_b32 v1, v9
.LBB10_28:                              ;   in Loop: Header=BB10_5 Depth=1
	s_or_b32 exec_lo, exec_lo, s1
	s_and_saveexec_b32 s1, s2
	s_cbranch_execz .LBB10_30
; %bb.29:                               ;   in Loop: Header=BB10_5 Depth=1
	s_waitcnt lgkmcnt(0)
	ds_bpermute_b32 v5, v5, v1
	s_waitcnt lgkmcnt(0)
	v_add_f32_e32 v1, v1, v5
	ds_bpermute_b32 v5, v6, v1
	s_waitcnt lgkmcnt(0)
	v_add_f32_e32 v1, v1, v5
	;; [unrolled: 3-line block ×5, first 2 shown]
.LBB10_30:                              ;   in Loop: Header=BB10_5 Depth=1
	s_or_b32 exec_lo, exec_lo, s1
	s_mov_b32 s1, -1
	s_mov_b32 s45, -1
                                        ; implicit-def: $sgpr40
                                        ; implicit-def: $sgpr41
                                        ; implicit-def: $sgpr39
                                        ; implicit-def: $sgpr43
                                        ; implicit-def: $sgpr42
	s_and_saveexec_b32 s44, s3
	s_cbranch_execz .LBB10_36
; %bb.31:                               ;   in Loop: Header=BB10_5 Depth=1
	v_lshlrev_b32_e32 v5, 16, v15
	s_mov_b32 s42, -1
	s_mov_b32 s39, 0
	s_mov_b32 s43, 0
	;; [unrolled: 1-line block ×3, first 2 shown]
	s_mov_b32 s40, exec_lo
	v_cmpx_neq_f32_e64 0x7f800000, |v5|
	s_cbranch_execz .LBB10_35
; %bb.32:                               ;   in Loop: Header=BB10_5 Depth=1
	s_mov_b32 s41, 0
	s_mov_b32 s42, exec_lo
	s_waitcnt lgkmcnt(0)
	v_cmpx_lt_f32_e32 0, v1
	s_cbranch_execz .LBB10_34
; %bb.33:                               ;   in Loop: Header=BB10_5 Depth=1
	s_lshl_b64 s[46:47], s[22:23], 1
	s_mov_b32 s41, exec_lo
	s_add_u32 s46, s12, s46
	s_addc_u32 s47, s13, s47
	global_load_u16 v5, v2, s[46:47]
	s_waitcnt vmcnt(0)
	v_lshlrev_b32_e32 v5, 16, v5
	ds_store_b32 v2, v2
	ds_store_2addr_b32 v13, v1, v5 offset1:1
.LBB10_34:                              ;   in Loop: Header=BB10_5 Depth=1
	s_or_b32 exec_lo, exec_lo, s42
	s_delay_alu instid0(SALU_CYCLE_1)
	s_mov_b32 s45, exec_lo
	s_xor_b32 s42, exec_lo, -1
	s_and_b32 s43, s41, exec_lo
.LBB10_35:                              ;   in Loop: Header=BB10_5 Depth=1
	s_or_b32 exec_lo, exec_lo, s40
	s_delay_alu instid0(SALU_CYCLE_1)
	s_and_b32 s41, s45, exec_lo
	s_and_b32 s40, s42, exec_lo
	s_or_not1_b32 s45, s43, exec_lo
	s_mov_b32 s43, 0
	s_mov_b32 s42, 0
.LBB10_36:                              ;   in Loop: Header=BB10_5 Depth=1
	s_or_b32 exec_lo, exec_lo, s44
	s_and_saveexec_b32 s44, s45
	s_cbranch_execz .LBB10_3
; %bb.37:                               ;   in Loop: Header=BB10_5 Depth=1
	s_waitcnt lgkmcnt(0)
	s_barrier
	buffer_gl0_inv
	ds_load_2addr_b32 v[5:6], v13 offset1:1
	s_waitcnt lgkmcnt(0)
	s_barrier
	buffer_gl0_inv
	v_cmp_neq_f32_e32 vcc_lo, 0, v5
	s_cbranch_vccz .LBB10_67
; %bb.38:                               ;   in Loop: Header=BB10_5 Depth=1
	s_and_b32 s1, s0, 0xffff
	ds_store_b8 v2, v2 offset:4
	v_cvt_f32_u32_e32 v1, s1
	s_sub_i32 s45, 0, s1
	s_add_i32 s46, s25, s1
	s_delay_alu instid0(VALU_DEP_1) | instskip(SKIP_2) | instid1(VALU_DEP_1)
	v_rcp_iflag_f32_e32 v1, v1
	s_waitcnt_depctr 0xfff
	v_mul_f32_e32 v1, 0x4f7ffffe, v1
	v_cvt_u32_f32_e32 v1, v1
	s_delay_alu instid0(VALU_DEP_1) | instskip(NEXT) | instid1(VALU_DEP_1)
	v_readfirstlane_b32 s0, v1
	s_mul_i32 s45, s45, s0
	s_delay_alu instid0(SALU_CYCLE_1) | instskip(NEXT) | instid1(SALU_CYCLE_1)
	s_mul_hi_u32 s45, s0, s45
	s_add_i32 s0, s0, s45
	s_delay_alu instid0(SALU_CYCLE_1) | instskip(NEXT) | instid1(SALU_CYCLE_1)
	s_mul_hi_u32 s0, s46, s0
	s_mul_i32 s45, s0, s1
	s_delay_alu instid0(SALU_CYCLE_1)
	s_sub_i32 s45, s46, s45
	s_add_i32 s46, s0, 1
	s_sub_i32 s47, s45, s1
	s_cmp_ge_u32 s45, s1
	s_cselect_b32 s0, s46, s0
	s_cselect_b32 s45, s47, s45
	s_add_i32 s46, s0, 1
	s_cmp_ge_u32 s45, s1
	s_cselect_b32 s45, s46, s0
	s_mov_b32 s0, 0
	s_cmp_lt_i32 s45, 1
	s_cbranch_scc1 .LBB10_60
; %bb.39:                               ;   in Loop: Header=BB10_5 Depth=1
	v_bfe_u32 v1, v6, 16, 1
	s_mul_i32 s0, s22, s24
	s_mul_hi_u32 s46, s22, s18
	s_mul_i32 s47, s23, s18
	s_add_i32 s0, s46, s0
	v_dual_mov_b32 v16, 0 :: v_dual_add_nc_u32 v1, v6, v1
	s_add_i32 s47, s0, s47
	s_mul_i32 s46, s22, s18
	v_cmp_o_f32_e32 vcc_lo, v6, v6
	s_delay_alu instid0(VALU_DEP_2)
	v_add_nc_u32_e32 v1, 0x7fff, v1
	s_lshl_b64 s[46:47], s[46:47], 1
	s_mov_b32 s50, 0
	s_add_u32 s46, s14, s46
	s_addc_u32 s47, s15, s47
	v_and_b32_e32 v1, 0xffff0000, v1
	s_cmp_gt_u32 s1, 1
	s_cselect_b32 s48, -1, 0
	s_lshl_b32 s0, s1, 2
	s_delay_alu instid0(VALU_DEP_1) | instskip(SKIP_1) | instid1(SALU_CYCLE_1)
	v_cndmask_b32_e32 v1, 0x7fc00000, v1, vcc_lo
	s_add_i32 s49, s0, 8
	s_add_i32 s49, s49, -4
	s_branch .LBB10_42
.LBB10_40:                              ;   in Loop: Header=BB10_42 Depth=2
	s_or_b32 exec_lo, exec_lo, s52
	ds_store_b8 v2, v14 offset:4
.LBB10_41:                              ;   in Loop: Header=BB10_42 Depth=2
	s_or_b32 exec_lo, exec_lo, s51
	v_mov_b32_e32 v6, s49
	s_add_i32 s50, s50, 1
	s_delay_alu instid0(SALU_CYCLE_1)
	s_cmp_ge_i32 s50, s45
	s_cselect_b32 s51, -1, 0
	ds_load_b32 v6, v6
	s_waitcnt lgkmcnt(0)
	s_barrier
	buffer_gl0_inv
	ds_load_u8 v7, v2 offset:4
	v_add_f32_e32 v16, v16, v6
	s_waitcnt lgkmcnt(0)
	v_readfirstlane_b32 s0, v7
	s_delay_alu instid0(VALU_DEP_1) | instskip(SKIP_1) | instid1(SALU_CYCLE_1)
	s_bitcmp1_b32 s0, 0
	s_cselect_b32 s0, -1, 0
	s_or_b32 s51, s51, s0
	s_delay_alu instid0(SALU_CYCLE_1)
	s_and_b32 vcc_lo, exec_lo, s51
	s_cbranch_vccnz .LBB10_60
.LBB10_42:                              ;   Parent Loop BB10_5 Depth=1
                                        ; =>  This Loop Header: Depth=2
                                        ;       Child Loop BB10_47 Depth 3
                                        ;       Child Loop BB10_57 Depth 3
	s_delay_alu instid0(VALU_DEP_1) | instskip(SKIP_1) | instid1(VALU_DEP_2)
	v_mad_u64_u32 v[6:7], null, s50, s1, v[0:1]
	v_mov_b32_e32 v7, 0
	v_cmp_gt_i32_e64 s0, s7, v6
	s_delay_alu instid0(VALU_DEP_1)
	s_and_saveexec_b32 s51, s0
	s_cbranch_execz .LBB10_44
; %bb.43:                               ;   in Loop: Header=BB10_42 Depth=2
	v_mul_lo_u32 v17, v6, s19
	s_delay_alu instid0(VALU_DEP_1) | instskip(NEXT) | instid1(VALU_DEP_1)
	v_ashrrev_i32_e32 v18, 31, v17
	v_lshlrev_b64 v[17:18], 1, v[17:18]
	s_delay_alu instid0(VALU_DEP_1) | instskip(NEXT) | instid1(VALU_DEP_2)
	v_add_co_u32 v17, vcc_lo, s46, v17
	v_add_co_ci_u32_e32 v18, vcc_lo, s47, v18, vcc_lo
	global_load_u16 v7, v[17:18], off
	s_waitcnt vmcnt(0)
	v_lshlrev_b32_e32 v7, 16, v7
	s_delay_alu instid0(VALU_DEP_1) | instskip(NEXT) | instid1(VALU_DEP_1)
	v_div_scale_f32 v17, null, v5, v5, v7
	v_rcp_f32_e32 v18, v17
	s_waitcnt_depctr 0xfff
	v_fma_f32 v19, -v17, v18, 1.0
	s_delay_alu instid0(VALU_DEP_1) | instskip(SKIP_1) | instid1(VALU_DEP_1)
	v_fmac_f32_e32 v18, v19, v18
	v_div_scale_f32 v19, vcc_lo, v7, v5, v7
	v_mul_f32_e32 v20, v19, v18
	s_delay_alu instid0(VALU_DEP_1) | instskip(NEXT) | instid1(VALU_DEP_1)
	v_fma_f32 v21, -v17, v20, v19
	v_fmac_f32_e32 v20, v21, v18
	s_delay_alu instid0(VALU_DEP_1) | instskip(NEXT) | instid1(VALU_DEP_1)
	v_fma_f32 v17, -v17, v20, v19
	v_div_fmas_f32 v17, v17, v18, v20
	s_delay_alu instid0(VALU_DEP_1)
	v_div_fixup_f32 v7, v17, v5, v7
.LBB10_44:                              ;   in Loop: Header=BB10_42 Depth=2
	s_or_b32 exec_lo, exec_lo, s51
	s_delay_alu instid0(SALU_CYCLE_1)
	s_and_not1_b32 vcc_lo, exec_lo, s48
	ds_store_b32 v10, v7
	s_waitcnt lgkmcnt(0)
	s_barrier
	buffer_gl0_inv
	s_cbranch_vccnz .LBB10_51
; %bb.45:                               ;   in Loop: Header=BB10_42 Depth=2
	s_mov_b32 s51, 1
	s_branch .LBB10_47
	.p2align	6
.LBB10_46:                              ;   in Loop: Header=BB10_47 Depth=3
	s_or_b32 exec_lo, exec_lo, s52
	s_lshl_b32 s51, s51, 1
	s_waitcnt lgkmcnt(0)
	s_cmp_ge_u32 s51, s1
	s_barrier
	buffer_gl0_inv
	s_cbranch_scc1 .LBB10_51
.LBB10_47:                              ;   Parent Loop BB10_5 Depth=1
                                        ;     Parent Loop BB10_42 Depth=2
                                        ; =>    This Inner Loop Header: Depth=3
	v_cmp_le_u32_e32 vcc_lo, s51, v0
	v_mov_b32_e32 v17, 0
	s_and_saveexec_b32 s52, vcc_lo
	s_cbranch_execz .LBB10_49
; %bb.48:                               ;   in Loop: Header=BB10_47 Depth=3
	v_subrev_nc_u32_e32 v17, s51, v0
	s_delay_alu instid0(VALU_DEP_1)
	v_lshl_add_u32 v17, v17, 2, 8
	ds_load_b32 v17, v17
	ds_load_b32 v18, v10
	s_waitcnt lgkmcnt(0)
	v_add_f32_e32 v17, v17, v18
.LBB10_49:                              ;   in Loop: Header=BB10_47 Depth=3
	s_or_b32 exec_lo, exec_lo, s52
	s_barrier
	buffer_gl0_inv
	s_and_saveexec_b32 s52, vcc_lo
	s_cbranch_execz .LBB10_46
; %bb.50:                               ;   in Loop: Header=BB10_47 Depth=3
	ds_store_b32 v10, v17
	s_branch .LBB10_46
.LBB10_51:                              ;   in Loop: Header=BB10_42 Depth=2
	ds_load_b32 v18, v10
	v_mov_b32_e32 v17, v16
	s_and_saveexec_b32 s51, s4
	s_cbranch_execz .LBB10_53
; %bb.52:                               ;   in Loop: Header=BB10_42 Depth=2
	ds_load_b32 v17, v11
	s_waitcnt lgkmcnt(0)
	v_add_f32_e32 v17, v16, v17
.LBB10_53:                              ;   in Loop: Header=BB10_42 Depth=2
	s_or_b32 exec_lo, exec_lo, s51
	s_and_saveexec_b32 s51, s0
	s_cbranch_execz .LBB10_41
; %bb.54:                               ;   in Loop: Header=BB10_42 Depth=2
	s_waitcnt lgkmcnt(0)
	v_add_f32_e32 v18, v16, v18
	s_delay_alu instid0(VALU_DEP_1) | instskip(NEXT) | instid1(VALU_DEP_1)
	v_bfe_u32 v19, v18, 16, 1
	v_add3_u32 v19, v18, v19, 0x7fff
	s_delay_alu instid0(VALU_DEP_1) | instskip(SKIP_1) | instid1(VALU_DEP_2)
	v_and_b32_e32 v19, 0xffff0000, v19
	v_cmp_o_f32_e32 vcc_lo, v18, v18
	v_cndmask_b32_e32 v18, 0x7fc00000, v19, vcc_lo
	s_delay_alu instid0(VALU_DEP_1)
	v_cmp_nge_f32_e32 vcc_lo, v1, v18
	s_and_b32 exec_lo, exec_lo, vcc_lo
	s_cbranch_execz .LBB10_41
; %bb.55:                               ;   in Loop: Header=BB10_42 Depth=2
	v_bfe_u32 v18, v17, 16, 1
	v_cmp_o_f32_e32 vcc_lo, v17, v17
	v_cmp_lt_f32_e64 s0, 0, v7
	s_delay_alu instid0(VALU_DEP_3) | instskip(NEXT) | instid1(VALU_DEP_1)
	v_add3_u32 v18, v17, v18, 0x7fff
	v_and_b32_e32 v18, 0xffff0000, v18
	s_delay_alu instid0(VALU_DEP_1) | instskip(NEXT) | instid1(VALU_DEP_1)
	v_cndmask_b32_e32 v17, 0x7fc00000, v18, vcc_lo
	v_cmp_ge_f32_e32 vcc_lo, v1, v17
	s_and_b32 s0, vcc_lo, s0
	s_delay_alu instid0(SALU_CYCLE_1)
	s_and_b32 exec_lo, exec_lo, s0
	s_cbranch_execz .LBB10_41
; %bb.56:                               ;   in Loop: Header=BB10_42 Depth=2
	s_mov_b32 s52, exec_lo
	s_mov_b32 s0, 0
.LBB10_57:                              ;   Parent Loop BB10_5 Depth=1
                                        ;     Parent Loop BB10_42 Depth=2
                                        ; =>    This Inner Loop Header: Depth=3
	s_ctz_i32_b32 s53, s52
	s_delay_alu instid0(SALU_CYCLE_1) | instskip(SKIP_1) | instid1(SALU_CYCLE_1)
	v_readlane_b32 s54, v6, s53
	s_lshl_b32 s53, 1, s53
	s_and_not1_b32 s52, s52, s53
	s_delay_alu instid0(VALU_DEP_1)
	s_max_u32 s0, s0, s54
	s_cmp_lg_u32 s52, 0
	s_cbranch_scc1 .LBB10_57
; %bb.58:                               ;   in Loop: Header=BB10_42 Depth=2
	v_mbcnt_lo_u32_b32 v6, exec_lo, 0
	s_mov_b32 s52, exec_lo
	s_delay_alu instid0(VALU_DEP_1)
	v_cmpx_eq_u32_e32 0, v6
	s_xor_b32 s52, exec_lo, s52
	s_cbranch_execz .LBB10_40
; %bb.59:                               ;   in Loop: Header=BB10_42 Depth=2
	v_mov_b32_e32 v6, s0
	ds_max_u32 v2, v6
	s_branch .LBB10_40
.LBB10_60:                              ;   in Loop: Header=BB10_5 Depth=1
	s_xor_b32 s1, s0, -1
	s_mov_b32 s45, 0
	s_mov_b32 s0, 0
	s_and_saveexec_b32 s46, s3
	s_cbranch_execz .LBB10_71
; %bb.61:                               ;   in Loop: Header=BB10_5 Depth=1
	s_and_b32 vcc_lo, exec_lo, s1
	s_cbranch_vccz .LBB10_68
; %bb.62:                               ;   in Loop: Header=BB10_5 Depth=1
	s_mul_i32 s0, s22, s24
	s_mul_hi_u32 s1, s22, s18
	s_mul_i32 s47, s23, s18
	s_add_i32 s1, s1, s0
	s_mul_i32 s0, s22, s18
	s_add_i32 s1, s1, s47
	s_mov_b32 s47, s7
	s_lshl_b64 s[48:49], s[0:1], 1
	s_mov_b32 s0, s26
	s_add_u32 s48, s14, s48
	s_addc_u32 s49, s15, s49
	s_branch .LBB10_64
	.p2align	6
.LBB10_63:                              ;   in Loop: Header=BB10_64 Depth=2
	s_ashr_i32 s1, s0, 31
	s_add_i32 s47, s47, -1
	s_lshl_b64 s[50:51], s[0:1], 1
	s_mov_b32 s1, 0
	s_add_u32 s50, s48, s50
	s_addc_u32 s51, s49, s51
	s_sub_i32 s0, s0, s19
	global_load_u16 v1, v2, s[50:51]
	s_waitcnt vmcnt(0)
	v_lshlrev_b32_e32 v1, 16, v1
	s_delay_alu instid0(VALU_DEP_1) | instskip(NEXT) | instid1(VALU_DEP_1)
	v_cmp_lt_f32_e64 s50, 0, v1
	s_and_not1_b32 vcc_lo, exec_lo, s50
	s_cbranch_vccz .LBB10_66
.LBB10_64:                              ;   Parent Loop BB10_5 Depth=1
                                        ; =>  This Inner Loop Header: Depth=2
	s_cmp_lt_i32 s47, 1
	s_cbranch_scc0 .LBB10_63
; %bb.65:                               ;   in Loop: Header=BB10_5 Depth=1
	s_mov_b32 s1, -1
                                        ; implicit-def: $sgpr0
                                        ; implicit-def: $sgpr47
.LBB10_66:                              ;   in Loop: Header=BB10_5 Depth=1
	s_delay_alu instid0(SALU_CYCLE_1)
	s_xor_b32 s0, s1, -1
	v_mov_b32_e32 v1, s47
	s_branch .LBB10_70
.LBB10_67:                              ;   in Loop: Header=BB10_5 Depth=1
	s_mov_b32 s0, 0
	s_cbranch_execnz .LBB10_72
	s_branch .LBB10_73
.LBB10_68:                              ;   in Loop: Header=BB10_5 Depth=1
                                        ; implicit-def: $sgpr47
	v_mov_b32_e32 v1, s47
	s_cbranch_execz .LBB10_70
; %bb.69:                               ;   in Loop: Header=BB10_5 Depth=1
	ds_load_b32 v1, v2
	s_mov_b32 s0, -1
.LBB10_70:                              ;   in Loop: Header=BB10_5 Depth=1
	s_delay_alu instid0(SALU_CYCLE_1)
	s_and_b32 s0, s0, exec_lo
.LBB10_71:                              ;   in Loop: Header=BB10_5 Depth=1
	s_or_b32 exec_lo, exec_lo, s46
	s_delay_alu instid0(SALU_CYCLE_1)
	s_and_b32 vcc_lo, exec_lo, s45
	s_cbranch_vccz .LBB10_73
.LBB10_72:                              ;   in Loop: Header=BB10_5 Depth=1
	s_waitcnt lgkmcnt(0)
	v_mov_b32_e32 v1, 0
	s_and_not1_b32 s0, s0, exec_lo
	s_and_b32 s1, s3, exec_lo
	s_delay_alu instid0(SALU_CYCLE_1)
	s_or_b32 s0, s0, s1
.LBB10_73:                              ;   in Loop: Header=BB10_5 Depth=1
	s_delay_alu instid0(SALU_CYCLE_1)
	s_and_saveexec_b32 s1, s0
	s_cbranch_execz .LBB10_2
; %bb.74:                               ;   in Loop: Header=BB10_5 Depth=1
	s_lshl_b64 s[46:47], s[22:23], 3
	s_delay_alu instid0(SALU_CYCLE_1)
	s_add_u32 s46, s8, s46
	s_addc_u32 s47, s9, s47
	s_waitcnt lgkmcnt(0)
	global_store_b64 v2, v[1:2], s[46:47]
	s_branch .LBB10_2
.LBB10_75:
	s_or_b32 exec_lo, exec_lo, s17
	s_xor_b32 s3, s30, -1
	s_xor_b32 s5, s28, -1
	;; [unrolled: 1-line block ×4, first 2 shown]
	s_mov_b32 s1, 0
	s_and_saveexec_b32 s2, s0
	s_delay_alu instid0(SALU_CYCLE_1)
	s_xor_b32 s0, exec_lo, s2
	s_cbranch_execz .LBB10_87
; %bb.76:
	s_mov_b32 s2, 0
	s_and_saveexec_b32 s1, s4
	s_delay_alu instid0(SALU_CYCLE_1)
	s_xor_b32 s1, exec_lo, s1
	s_cbranch_execz .LBB10_85
; %bb.77:
	;; [unrolled: 6-line block ×3, first 2 shown]
	s_and_saveexec_b32 s5, s3
	s_delay_alu instid0(SALU_CYCLE_1)
	s_xor_b32 s3, exec_lo, s5
	s_cbranch_execz .LBB10_81
; %bb.79:
	s_and_saveexec_b32 s5, s16
	s_delay_alu instid0(SALU_CYCLE_1)
	s_xor_b32 s5, exec_lo, s5
	s_cbranch_execnz .LBB10_105
.LBB10_80:
	s_or_b32 exec_lo, exec_lo, s5
	s_delay_alu instid0(SALU_CYCLE_1)
	s_and_b32 s4, s4, exec_lo
.LBB10_81:
	s_and_not1_saveexec_b32 s3, s3
	s_cbranch_execnz .LBB10_101
.LBB10_82:
	s_or_b32 exec_lo, exec_lo, s3
	s_delay_alu instid0(SALU_CYCLE_1)
	s_and_b32 s4, s4, exec_lo
.LBB10_83:
	s_and_not1_saveexec_b32 s2, s2
	s_cbranch_execnz .LBB10_97
.LBB10_84:
	s_or_b32 exec_lo, exec_lo, s2
	s_delay_alu instid0(SALU_CYCLE_1)
	s_and_b32 s2, s4, exec_lo
.LBB10_85:
	s_and_not1_saveexec_b32 s1, s1
	s_cbranch_execnz .LBB10_93
.LBB10_86:
	s_or_b32 exec_lo, exec_lo, s1
	s_delay_alu instid0(SALU_CYCLE_1)
	s_and_b32 s1, s2, exec_lo
.LBB10_87:
	s_and_not1_saveexec_b32 s0, s0
	s_cbranch_execnz .LBB10_91
; %bb.88:
	s_or_b32 exec_lo, exec_lo, s0
	s_and_saveexec_b32 s0, s1
.LBB10_89:
	; divergent unreachable
.LBB10_90:
	s_nop 0
	s_sendmsg sendmsg(MSG_DEALLOC_VGPRS)
	s_endpgm
.LBB10_91:
	s_cbranch_execnz .LBB10_95
; %bb.92:
	s_or_b32 s1, s1, exec_lo
	s_or_b32 exec_lo, exec_lo, s0
	s_and_saveexec_b32 s0, s1
	s_cbranch_execnz .LBB10_89
	s_branch .LBB10_90
.LBB10_93:
	s_cbranch_execnz .LBB10_99
; %bb.94:
	s_or_b32 s2, s2, exec_lo
	s_branch .LBB10_86
.LBB10_95:
	s_trap 2
	s_sendmsg_rtn_b32 s0, sendmsg(MSG_RTN_GET_DOORBELL)
	s_mov_b32 ttmp2, m0
	s_waitcnt lgkmcnt(0)
	s_and_b32 s0, s0, 0x3ff
	s_delay_alu instid0(SALU_CYCLE_1) | instskip(NEXT) | instid1(SALU_CYCLE_1)
	s_bitset1_b32 s0, 10
	s_mov_b32 m0, s0
	s_sendmsg sendmsg(MSG_INTERRUPT)
	s_mov_b32 m0, ttmp2
.LBB10_96:                              ; =>This Inner Loop Header: Depth=1
	s_sethalt 5
	s_branch .LBB10_96
.LBB10_97:
	s_cbranch_execnz .LBB10_103
; %bb.98:
	s_or_b32 s4, s4, exec_lo
	s_branch .LBB10_84
.LBB10_99:
	s_trap 2
	s_sendmsg_rtn_b32 s0, sendmsg(MSG_RTN_GET_DOORBELL)
	s_mov_b32 ttmp2, m0
	s_waitcnt lgkmcnt(0)
	s_and_b32 s0, s0, 0x3ff
	s_delay_alu instid0(SALU_CYCLE_1) | instskip(NEXT) | instid1(SALU_CYCLE_1)
	s_bitset1_b32 s0, 10
	s_mov_b32 m0, s0
	s_sendmsg sendmsg(MSG_INTERRUPT)
	s_mov_b32 m0, ttmp2
.LBB10_100:                             ; =>This Inner Loop Header: Depth=1
	s_sethalt 5
	s_branch .LBB10_100
.LBB10_101:
	s_cbranch_execnz .LBB10_107
; %bb.102:
	s_or_b32 s4, s4, exec_lo
	s_branch .LBB10_82
.LBB10_103:
	s_trap 2
	s_sendmsg_rtn_b32 s0, sendmsg(MSG_RTN_GET_DOORBELL)
	s_mov_b32 ttmp2, m0
	s_waitcnt lgkmcnt(0)
	s_and_b32 s0, s0, 0x3ff
	s_delay_alu instid0(SALU_CYCLE_1) | instskip(NEXT) | instid1(SALU_CYCLE_1)
	s_bitset1_b32 s0, 10
	s_mov_b32 m0, s0
	s_sendmsg sendmsg(MSG_INTERRUPT)
	s_mov_b32 m0, ttmp2
.LBB10_104:                             ; =>This Inner Loop Header: Depth=1
	s_sethalt 5
	s_branch .LBB10_104
.LBB10_105:
	s_cbranch_execnz .LBB10_109
; %bb.106:
	s_mov_b32 s4, exec_lo
	s_branch .LBB10_80
.LBB10_107:
	s_trap 2
	s_sendmsg_rtn_b32 s0, sendmsg(MSG_RTN_GET_DOORBELL)
	s_mov_b32 ttmp2, m0
	s_waitcnt lgkmcnt(0)
	s_and_b32 s0, s0, 0x3ff
	s_delay_alu instid0(SALU_CYCLE_1) | instskip(NEXT) | instid1(SALU_CYCLE_1)
	s_bitset1_b32 s0, 10
	s_mov_b32 m0, s0
	s_sendmsg sendmsg(MSG_INTERRUPT)
	s_mov_b32 m0, ttmp2
.LBB10_108:                             ; =>This Inner Loop Header: Depth=1
	s_sethalt 5
	s_branch .LBB10_108
.LBB10_109:
	s_trap 2
	s_sendmsg_rtn_b32 s0, sendmsg(MSG_RTN_GET_DOORBELL)
	s_mov_b32 ttmp2, m0
	s_waitcnt lgkmcnt(0)
	s_and_b32 s0, s0, 0x3ff
	s_delay_alu instid0(SALU_CYCLE_1) | instskip(NEXT) | instid1(SALU_CYCLE_1)
	s_bitset1_b32 s0, 10
	s_mov_b32 m0, s0
	s_sendmsg sendmsg(MSG_INTERRUPT)
	s_mov_b32 m0, ttmp2
.LBB10_110:                             ; =>This Inner Loop Header: Depth=1
	s_sethalt 5
	s_branch .LBB10_110
	.section	.rodata,"a",@progbits
	.p2align	6, 0x0
	.amdhsa_kernel _ZN2at6native12_GLOBAL__N_121sampleMultinomialOnceIN3c108BFloat16EfEEvPlliPKT_S8_ii
		.amdhsa_group_segment_fixed_size 8
		.amdhsa_private_segment_fixed_size 0
		.amdhsa_kernarg_size 304
		.amdhsa_user_sgpr_count 15
		.amdhsa_user_sgpr_dispatch_ptr 0
		.amdhsa_user_sgpr_queue_ptr 0
		.amdhsa_user_sgpr_kernarg_segment_ptr 1
		.amdhsa_user_sgpr_dispatch_id 0
		.amdhsa_user_sgpr_private_segment_size 0
		.amdhsa_wavefront_size32 1
		.amdhsa_uses_dynamic_stack 0
		.amdhsa_enable_private_segment 0
		.amdhsa_system_sgpr_workgroup_id_x 1
		.amdhsa_system_sgpr_workgroup_id_y 0
		.amdhsa_system_sgpr_workgroup_id_z 0
		.amdhsa_system_sgpr_workgroup_info 0
		.amdhsa_system_vgpr_workitem_id 0
		.amdhsa_next_free_vgpr 22
		.amdhsa_next_free_sgpr 63
		.amdhsa_reserve_vcc 1
		.amdhsa_float_round_mode_32 0
		.amdhsa_float_round_mode_16_64 0
		.amdhsa_float_denorm_mode_32 3
		.amdhsa_float_denorm_mode_16_64 3
		.amdhsa_dx10_clamp 1
		.amdhsa_ieee_mode 1
		.amdhsa_fp16_overflow 0
		.amdhsa_workgroup_processor_mode 1
		.amdhsa_memory_ordered 1
		.amdhsa_forward_progress 0
		.amdhsa_shared_vgpr_count 0
		.amdhsa_exception_fp_ieee_invalid_op 0
		.amdhsa_exception_fp_denorm_src 0
		.amdhsa_exception_fp_ieee_div_zero 0
		.amdhsa_exception_fp_ieee_overflow 0
		.amdhsa_exception_fp_ieee_underflow 0
		.amdhsa_exception_fp_ieee_inexact 0
		.amdhsa_exception_int_div_zero 0
	.end_amdhsa_kernel
	.section	.text._ZN2at6native12_GLOBAL__N_121sampleMultinomialOnceIN3c108BFloat16EfEEvPlliPKT_S8_ii,"axG",@progbits,_ZN2at6native12_GLOBAL__N_121sampleMultinomialOnceIN3c108BFloat16EfEEvPlliPKT_S8_ii,comdat
.Lfunc_end10:
	.size	_ZN2at6native12_GLOBAL__N_121sampleMultinomialOnceIN3c108BFloat16EfEEvPlliPKT_S8_ii, .Lfunc_end10-_ZN2at6native12_GLOBAL__N_121sampleMultinomialOnceIN3c108BFloat16EfEEvPlliPKT_S8_ii
                                        ; -- End function
	.section	.AMDGPU.csdata,"",@progbits
; Kernel info:
; codeLenInByte = 3760
; NumSgprs: 65
; NumVgprs: 22
; ScratchSize: 0
; MemoryBound: 0
; FloatMode: 240
; IeeeMode: 1
; LDSByteSize: 8 bytes/workgroup (compile time only)
; SGPRBlocks: 8
; VGPRBlocks: 2
; NumSGPRsForWavesPerEU: 65
; NumVGPRsForWavesPerEU: 22
; Occupancy: 16
; WaveLimiterHint : 0
; COMPUTE_PGM_RSRC2:SCRATCH_EN: 0
; COMPUTE_PGM_RSRC2:USER_SGPR: 15
; COMPUTE_PGM_RSRC2:TRAP_HANDLER: 0
; COMPUTE_PGM_RSRC2:TGID_X_EN: 1
; COMPUTE_PGM_RSRC2:TGID_Y_EN: 0
; COMPUTE_PGM_RSRC2:TGID_Z_EN: 0
; COMPUTE_PGM_RSRC2:TIDIG_COMP_CNT: 0
	.section	.text._ZN2at6native12_GLOBAL__N_132sampleMultinomialWithReplacementIN3c108BFloat16EEEvNS_15PhiloxCudaStateEiPlliPKT_S9_,"axG",@progbits,_ZN2at6native12_GLOBAL__N_132sampleMultinomialWithReplacementIN3c108BFloat16EEEvNS_15PhiloxCudaStateEiPlliPKT_S9_,comdat
	.globl	_ZN2at6native12_GLOBAL__N_132sampleMultinomialWithReplacementIN3c108BFloat16EEEvNS_15PhiloxCudaStateEiPlliPKT_S9_ ; -- Begin function _ZN2at6native12_GLOBAL__N_132sampleMultinomialWithReplacementIN3c108BFloat16EEEvNS_15PhiloxCudaStateEiPlliPKT_S9_
	.p2align	8
	.type	_ZN2at6native12_GLOBAL__N_132sampleMultinomialWithReplacementIN3c108BFloat16EEEvNS_15PhiloxCudaStateEiPlliPKT_S9_,@function
_ZN2at6native12_GLOBAL__N_132sampleMultinomialWithReplacementIN3c108BFloat16EEEvNS_15PhiloxCudaStateEiPlliPKT_S9_: ; @_ZN2at6native12_GLOBAL__N_132sampleMultinomialWithReplacementIN3c108BFloat16EEEvNS_15PhiloxCudaStateEiPlliPKT_S9_
; %bb.0:
	s_clause 0x1
	s_load_b128 s[4:7], s[0:1], 0x0
	s_load_b32 s3, s[0:1], 0x18
	s_mov_b32 s2, s15
	s_waitcnt lgkmcnt(0)
	v_dual_mov_b32 v12, s7 :: v_dual_mov_b32 v11, s6
	v_dual_mov_b32 v1, s4 :: v_dual_mov_b32 v2, s5
	s_bitcmp0_b32 s3, 0
	s_mov_b32 s3, 0
	s_cbranch_scc1 .LBB11_2
; %bb.1:
	v_dual_mov_b32 v1, s6 :: v_dual_mov_b32 v2, s7
	flat_load_b64 v[3:4], v[1:2]
	v_dual_mov_b32 v1, s4 :: v_dual_mov_b32 v2, s5
	s_load_b64 s[4:5], s[0:1], 0x10
	flat_load_b64 v[1:2], v[1:2]
	s_waitcnt vmcnt(1) lgkmcnt(0)
	v_add_co_u32 v11, vcc_lo, v3, s4
	v_add_co_ci_u32_e32 v12, vcc_lo, s5, v4, vcc_lo
.LBB11_2:
	s_load_b128 s[4:7], s[0:1], 0x28
	s_waitcnt lgkmcnt(0)
	v_cmp_ge_i64_e64 s8, s[2:3], s[6:7]
	s_delay_alu instid0(VALU_DEP_1)
	s_and_b32 vcc_lo, exec_lo, s8
	s_cbranch_vccnz .LBB11_36
; %bb.3:
	s_clause 0x2
	s_load_b32 s12, s[0:1], 0x38
	s_load_b32 s25, s[0:1], 0x50
	;; [unrolled: 1-line block ×3, first 2 shown]
	v_alignbit_b32 v13, v12, v11, 2
	v_lshrrev_b32_e32 v17, 2, v12
	s_waitcnt vmcnt(0)
	v_mov_b32_e32 v30, v2
	v_add_co_u32 v14, null, 0x9e3779b9, v1
	v_mad_u64_u32 v[5:6], null, 0xd2511f53, v13, 0
	s_delay_alu instid0(VALU_DEP_3)
	v_add_co_u32 v15, null, 0xbb67ae85, v30
	v_add_co_u32 v18, null, 0x76cf5d0a, v30
	;; [unrolled: 1-line block ×5, first 2 shown]
	s_waitcnt lgkmcnt(0)
	s_ashr_i32 s13, s12, 31
	s_mul_i32 s18, s25, s2
	s_add_u32 s16, s0, 0x50
	s_addc_u32 s17, s1, 0
	s_add_i32 s18, s18, s14
	s_and_b32 s15, s15, 0xffff
	v_add_co_u32 v24, null, 0x1715609d, v1
	v_mad_u64_u32 v[3:4], null, s18, s15, v[0:1]
	v_xor_b32_e32 v4, v6, v2
	v_add_co_u32 v25, null, 0xa9066899, v30
	v_add_co_u32 v28, null, 0x5384540f, v1
	;; [unrolled: 1-line block ×3, first 2 shown]
	v_mad_u64_u32 v[6:7], null, 0xcd9e8d57, v3, 0
	v_ashrrev_i32_e32 v16, 31, v3
	s_clause 0x1
	s_load_b128 s[8:11], s[0:1], 0x40
	s_load_b32 s20, s[0:1], 0x20
	v_add_co_u32 v31, null, 0xf1bbcdc8, v1
	v_xor_b32_e32 v4, v4, v16
	s_delay_alu instid0(VALU_DEP_4)
	v_xor3_b32 v12, v1, v7, v17
	v_cmp_gt_i64_e64 s22, s[12:13], 0
	s_mov_b32 s21, 0
	s_add_i32 s23, s12, -1
	v_mad_u64_u32 v[7:8], null, 0xcd9e8d57, v4, 0
	v_mad_u64_u32 v[9:10], null, 0xd2511f53, v12, 0
	s_mul_i32 s25, s25, s15
                                        ; implicit-def: $sgpr26
                                        ; implicit-def: $sgpr27
	s_delay_alu instid0(VALU_DEP_2) | instskip(NEXT) | instid1(VALU_DEP_2)
	v_xor3_b32 v6, v14, v8, v6
	v_xor3_b32 v8, v15, v10, v5
	s_waitcnt lgkmcnt(0)
	s_ashr_i32 s24, s20, 31
	s_delay_alu instid0(VALU_DEP_2) | instskip(NEXT) | instid1(VALU_DEP_2)
	v_mad_u64_u32 v[4:5], null, 0xd2511f53, v6, 0
	v_mad_u64_u32 v[22:23], null, 0xcd9e8d57, v8, 0
	s_delay_alu instid0(VALU_DEP_2) | instskip(NEXT) | instid1(VALU_DEP_2)
	v_xor3_b32 v8, v18, v5, v9
	v_xor3_b32 v9, v19, v23, v7
	v_add_co_u32 v23, null, 0x78dde6e4, v1
	s_delay_alu instid0(VALU_DEP_3) | instskip(NEXT) | instid1(VALU_DEP_3)
	v_mad_u64_u32 v[5:6], null, 0xcd9e8d57, v8, 0
	v_mad_u64_u32 v[7:8], null, 0xd2511f53, v9, 0
	s_delay_alu instid0(VALU_DEP_2) | instskip(SKIP_1) | instid1(VALU_DEP_3)
	v_xor3_b32 v6, v20, v6, v22
	v_add_co_u32 v22, null, 0xed9eba14, v30
	v_xor3_b32 v4, v21, v8, v4
	s_delay_alu instid0(VALU_DEP_3) | instskip(NEXT) | instid1(VALU_DEP_2)
	v_mad_u64_u32 v[8:9], null, 0xd2511f53, v6, 0
	v_mad_u64_u32 v[26:27], null, 0xcd9e8d57, v4, 0
	s_delay_alu instid0(VALU_DEP_2) | instskip(NEXT) | instid1(VALU_DEP_2)
	v_xor3_b32 v6, v22, v9, v7
	v_xor3_b32 v9, v23, v27, v5
	v_add_co_u32 v27, null, 0xb54cda56, v1
	s_delay_alu instid0(VALU_DEP_3) | instskip(NEXT) | instid1(VALU_DEP_3)
	v_mad_u64_u32 v[4:5], null, 0xcd9e8d57, v6, 0
	v_mad_u64_u32 v[6:7], null, 0xd2511f53, v9, 0
	s_delay_alu instid0(VALU_DEP_2) | instskip(SKIP_1) | instid1(VALU_DEP_3)
	v_xor3_b32 v5, v24, v5, v26
	v_add_co_u32 v26, null, 0x646e171e, v30
	v_xor3_b32 v12, v25, v7, v8
	s_delay_alu instid0(VALU_DEP_3) | instskip(NEXT) | instid1(VALU_DEP_2)
	v_mad_u64_u32 v[7:8], null, 0xd2511f53, v5, 0
	v_mad_u64_u32 v[9:10], null, 0xcd9e8d57, v12, 0
	s_delay_alu instid0(VALU_DEP_2) | instskip(NEXT) | instid1(VALU_DEP_2)
	v_xor3_b32 v6, v26, v8, v6
	v_xor3_b32 v8, v27, v10, v4
	s_delay_alu instid0(VALU_DEP_2) | instskip(NEXT) | instid1(VALU_DEP_2)
	v_mad_u64_u32 v[4:5], null, 0xcd9e8d57, v6, 0
	v_mad_u64_u32 v[32:33], null, 0xd2511f53, v8, 0
	s_delay_alu instid0(VALU_DEP_2) | instskip(NEXT) | instid1(VALU_DEP_2)
	v_xor3_b32 v5, v28, v5, v9
	v_xor3_b32 v6, v29, v33, v7
	v_and_b32_e32 v33, 3, v11
	s_delay_alu instid0(VALU_DEP_3) | instskip(SKIP_1) | instid1(VALU_DEP_4)
	v_mad_u64_u32 v[34:35], null, 0xd2511f53, v5, 0
	v_add_co_u32 v30, null, 0xdb3d7428, v30
	v_mad_u64_u32 v[36:37], null, 0xcd9e8d57, v6, 0
	s_delay_alu instid0(VALU_DEP_2) | instskip(SKIP_1) | instid1(VALU_DEP_3)
	v_xor3_b32 v6, v30, v35, v32
	v_add_nc_u32_e32 v32, 0x96a522ad, v2
	v_xor3_b32 v12, v31, v37, v4
	v_mad_u64_u32 v[4:5], null, s14, s15, v[0:1]
	s_delay_alu instid0(VALU_DEP_4) | instskip(NEXT) | instid1(VALU_DEP_3)
	v_mad_u64_u32 v[9:10], null, 0xcd9e8d57, v6, 0
	v_mad_u64_u32 v[7:8], null, 0xd2511f53, v12, 0
	v_add_nc_u32_e32 v0, 0x8ff34781, v1
	v_mov_b32_e32 v6, 0
	v_cmp_gt_i32_e64 s0, s20, v4
	s_lshl_b64 s[14:15], s[12:13], 1
	s_delay_alu instid0(VALU_DEP_3)
	v_xor3_b32 v10, v10, v36, v0
	v_xor3_b32 v8, v8, v34, v32
	s_branch .LBB11_5
.LBB11_4:                               ;   in Loop: Header=BB11_5 Depth=1
	s_or_b32 exec_lo, exec_lo, s19
	s_delay_alu instid0(SALU_CYCLE_1) | instskip(NEXT) | instid1(SALU_CYCLE_1)
	s_and_b32 s1, exec_lo, s18
	s_or_b32 s21, s1, s21
	s_and_not1_b32 s1, s26, exec_lo
	s_and_b32 s18, s27, exec_lo
	s_delay_alu instid0(SALU_CYCLE_1)
	s_or_b32 s26, s1, s18
	s_and_not1_b32 exec_lo, exec_lo, s21
	s_cbranch_execz .LBB11_35
.LBB11_5:                               ; =>This Loop Header: Depth=1
                                        ;     Child Loop BB11_9 Depth 2
                                        ;       Child Loop BB11_22 Depth 3
                                        ;       Child Loop BB11_28 Depth 3
	s_mov_b32 s1, -1
                                        ; implicit-def: $sgpr18
	s_and_saveexec_b32 s28, s0
	s_cbranch_execz .LBB11_33
; %bb.6:                                ;   in Loop: Header=BB11_5 Depth=1
	s_mul_i32 s1, s2, s13
	s_mul_hi_u32 s18, s2, s12
	s_mul_i32 s19, s3, s12
	s_add_i32 s1, s18, s1
	s_mul_i32 s18, s2, s12
	s_add_i32 s19, s1, s19
	s_mul_i32 s1, s2, s24
	s_lshl_b64 s[18:19], s[18:19], 1
	s_mul_hi_u32 s34, s2, s20
	s_add_u32 s29, s8, s18
	s_addc_u32 s30, s9, s19
	s_add_u32 s31, s10, s18
	s_addc_u32 s33, s11, s19
	;; [unrolled: 2-line block ×3, first 2 shown]
	s_add_i32 s1, s34, s1
	s_mul_i32 s34, s3, s20
	v_mov_b32_e32 v11, v4
	s_add_i32 s35, s1, s34
	s_mul_i32 s34, s2, s20
                                        ; implicit-def: $sgpr37
                                        ; implicit-def: $sgpr38
	s_delay_alu instid0(SALU_CYCLE_1) | instskip(NEXT) | instid1(SALU_CYCLE_1)
	s_lshl_b64 s[34:35], s[34:35], 3
	s_add_u32 s34, s4, s34
	s_addc_u32 s36, s5, s35
	s_mov_b32 s35, 0
	s_branch .LBB11_9
.LBB11_7:                               ;   in Loop: Header=BB11_9 Depth=2
	s_mov_b32 s1, -1
	s_mov_b32 s39, -1
                                        ; implicit-def: $vgpr11
                                        ; implicit-def: $vgpr10
                                        ; implicit-def: $vgpr9
                                        ; implicit-def: $vgpr8
                                        ; implicit-def: $vgpr7
                                        ; implicit-def: $vgpr13
                                        ; implicit-def: $vgpr17
                                        ; implicit-def: $vgpr3
                                        ; implicit-def: $vgpr16
.LBB11_8:                               ;   in Loop: Header=BB11_9 Depth=2
	s_delay_alu instid0(SALU_CYCLE_1) | instskip(SKIP_1) | instid1(SALU_CYCLE_1)
	s_xor_b32 s39, s39, -1
	s_and_b32 s40, exec_lo, s1
	s_or_b32 s35, s40, s35
	s_and_not1_b32 s38, s38, exec_lo
	s_and_b32 s1, s1, exec_lo
	s_and_not1_b32 s37, s37, exec_lo
	s_and_b32 s39, s39, exec_lo
	s_or_b32 s38, s38, s1
	s_or_b32 s37, s37, s39
	s_and_not1_b32 exec_lo, exec_lo, s35
	s_cbranch_execz .LBB11_32
.LBB11_9:                               ;   Parent Loop BB11_5 Depth=1
                                        ; =>  This Loop Header: Depth=2
                                        ;       Child Loop BB11_22 Depth 3
                                        ;       Child Loop BB11_28 Depth 3
	v_add_co_u32 v13, vcc_lo, v13, 1
	s_delay_alu instid0(VALU_DEP_1) | instskip(SKIP_2) | instid1(VALU_DEP_1)
	v_cndmask_b32_e64 v5, 0, 1, vcc_lo
	v_add_co_ci_u32_e32 v17, vcc_lo, 0, v17, vcc_lo
	s_mov_b32 s39, exec_lo
	v_cmp_eq_u32_e32 vcc_lo, 0, v17
	s_delay_alu instid0(VALU_DEP_3) | instskip(NEXT) | instid1(VALU_DEP_1)
	v_cndmask_b32_e32 v12, 0, v5, vcc_lo
	v_add_nc_u32_e32 v3, v12, v3
	s_delay_alu instid0(VALU_DEP_1)
	v_cmp_eq_u32_e64 s1, 0, v3
	v_cmpx_lt_i32_e32 1, v33
	s_xor_b32 s39, exec_lo, s39
	s_cbranch_execz .LBB11_15
; %bb.10:                               ;   in Loop: Header=BB11_9 Depth=2
	s_mov_b32 s40, exec_lo
	v_cmpx_lt_i32_e32 2, v33
	s_xor_b32 s40, exec_lo, s40
; %bb.11:                               ;   in Loop: Header=BB11_9 Depth=2
                                        ; implicit-def: $vgpr8
; %bb.12:                               ;   in Loop: Header=BB11_9 Depth=2
	s_delay_alu instid0(SALU_CYCLE_1)
	s_and_not1_saveexec_b32 s40, s40
; %bb.13:                               ;   in Loop: Header=BB11_9 Depth=2
	v_mov_b32_e32 v7, v8
; %bb.14:                               ;   in Loop: Header=BB11_9 Depth=2
	s_or_b32 exec_lo, exec_lo, s40
                                        ; implicit-def: $vgpr10
                                        ; implicit-def: $vgpr9
.LBB11_15:                              ;   in Loop: Header=BB11_9 Depth=2
	s_and_not1_saveexec_b32 s39, s39
	s_cbranch_execz .LBB11_19
; %bb.16:                               ;   in Loop: Header=BB11_9 Depth=2
	s_mov_b32 s40, exec_lo
	v_cmpx_eq_u32_e32 1, v33
; %bb.17:                               ;   in Loop: Header=BB11_9 Depth=2
	v_mov_b32_e32 v10, v9
; %bb.18:                               ;   in Loop: Header=BB11_9 Depth=2
	s_or_b32 exec_lo, exec_lo, s40
	s_delay_alu instid0(VALU_DEP_1)
	v_mov_b32_e32 v7, v10
.LBB11_19:                              ;   in Loop: Header=BB11_9 Depth=2
	s_or_b32 exec_lo, exec_lo, s39
	global_load_u16 v5, v6, s[18:19] offset:-2
	s_waitcnt vmcnt(0)
	v_lshlrev_b32_e32 v5, 16, v5
	s_delay_alu instid0(VALU_DEP_1)
	v_cmp_nlt_f32_e32 vcc_lo, 0, v5
	s_cbranch_vccnz .LBB11_7
; %bb.20:                               ;   in Loop: Header=BB11_9 Depth=2
	s_and_not1_b32 vcc_lo, exec_lo, s22
	s_cbranch_vccnz .LBB11_24
; %bb.21:                               ;   in Loop: Header=BB11_9 Depth=2
	v_cvt_f32_u32_e32 v5, v7
	s_mov_b32 s39, 0
	v_mov_b32_e32 v34, 0
	s_delay_alu instid0(VALU_DEP_2) | instskip(NEXT) | instid1(VALU_DEP_1)
	v_dual_mov_b32 v8, s12 :: v_dual_fmaak_f32 v5, 0x2f800000, v5, 0x2f800000
	v_bfe_u32 v7, v5, 16, 1
	s_delay_alu instid0(VALU_DEP_1) | instskip(SKIP_1) | instid1(VALU_DEP_2)
	v_add3_u32 v7, v5, v7, 0x7fff
	v_mov_b32_e32 v5, s12
	v_and_b32_e32 v7, 0xffff0000, v7
	.p2align	6
.LBB11_22:                              ;   Parent Loop BB11_5 Depth=1
                                        ;     Parent Loop BB11_9 Depth=2
                                        ; =>    This Inner Loop Header: Depth=3
	s_delay_alu instid0(VALU_DEP_2) | instskip(NEXT) | instid1(VALU_DEP_1)
	v_lshrrev_b32_e32 v5, 1, v5
	v_add_nc_u32_e32 v5, v5, v34
	s_delay_alu instid0(VALU_DEP_1) | instskip(NEXT) | instid1(VALU_DEP_1)
	v_lshlrev_b64 v[9:10], 1, v[5:6]
	v_add_co_u32 v9, vcc_lo, s29, v9
	s_delay_alu instid0(VALU_DEP_2) | instskip(SKIP_4) | instid1(VALU_DEP_1)
	v_add_co_ci_u32_e32 v10, vcc_lo, s30, v10, vcc_lo
	global_load_u16 v9, v[9:10], off
	v_add_nc_u32_e32 v10, 1, v5
	s_waitcnt vmcnt(0)
	v_lshlrev_b32_e32 v9, 16, v9
	v_cmp_lt_f32_e32 vcc_lo, v9, v7
	v_cndmask_b32_e32 v8, v5, v8, vcc_lo
	v_cndmask_b32_e32 v34, v34, v10, vcc_lo
	s_delay_alu instid0(VALU_DEP_1) | instskip(NEXT) | instid1(VALU_DEP_1)
	v_sub_nc_u32_e32 v5, v8, v34
	v_cmp_gt_i32_e32 vcc_lo, 1, v5
	s_or_b32 s39, vcc_lo, s39
	s_delay_alu instid0(SALU_CYCLE_1)
	s_and_not1_b32 exec_lo, exec_lo, s39
	s_cbranch_execnz .LBB11_22
; %bb.23:                               ;   in Loop: Header=BB11_9 Depth=2
	s_or_b32 exec_lo, exec_lo, s39
	s_branch .LBB11_25
.LBB11_24:                              ;   in Loop: Header=BB11_9 Depth=2
	v_mov_b32_e32 v34, 0
.LBB11_25:                              ;   in Loop: Header=BB11_9 Depth=2
	v_mad_u64_u32 v[7:8], null, 0xd2511f53, v13, 0
	v_cndmask_b32_e64 v5, 0, v12, s1
	v_mad_u64_u32 v[9:10], null, 0xcd9e8d57, v3, 0
	s_delay_alu instid0(VALU_DEP_4) | instskip(SKIP_1) | instid1(VALU_DEP_3)
	v_cmp_eq_u32_e32 vcc_lo, s12, v34
	s_mov_b32 s1, exec_lo
	v_add_nc_u32_e32 v16, v5, v16
	v_xor_b32_e32 v5, v8, v2
	s_delay_alu instid0(VALU_DEP_4) | instskip(NEXT) | instid1(VALU_DEP_2)
	v_xor3_b32 v8, v10, v1, v17
	v_xor_b32_e32 v5, v16, v5
	s_delay_alu instid0(VALU_DEP_2) | instskip(NEXT) | instid1(VALU_DEP_2)
	v_mad_u64_u32 v[37:38], null, 0xd2511f53, v8, 0
	v_mad_u64_u32 v[35:36], null, 0xcd9e8d57, v5, 0
	s_delay_alu instid0(VALU_DEP_2) | instskip(NEXT) | instid1(VALU_DEP_2)
	v_xor3_b32 v12, v15, v38, v7
	v_xor3_b32 v5, v14, v36, v9
	s_delay_alu instid0(VALU_DEP_2) | instskip(NEXT) | instid1(VALU_DEP_2)
	v_mad_u64_u32 v[9:10], null, 0xcd9e8d57, v12, 0
	v_mad_u64_u32 v[7:8], null, 0xd2511f53, v5, 0
	s_delay_alu instid0(VALU_DEP_1) | instskip(NEXT) | instid1(VALU_DEP_3)
	v_xor3_b32 v5, v18, v8, v37
	v_xor3_b32 v8, v19, v10, v35
	s_delay_alu instid0(VALU_DEP_2) | instskip(NEXT) | instid1(VALU_DEP_2)
	v_mad_u64_u32 v[35:36], null, 0xcd9e8d57, v5, 0
	v_mad_u64_u32 v[37:38], null, 0xd2511f53, v8, 0
	s_delay_alu instid0(VALU_DEP_2) | instskip(NEXT) | instid1(VALU_DEP_2)
	v_xor3_b32 v5, v20, v36, v9
	v_xor3_b32 v12, v21, v38, v7
	s_delay_alu instid0(VALU_DEP_2) | instskip(NEXT) | instid1(VALU_DEP_2)
	v_mad_u64_u32 v[7:8], null, 0xd2511f53, v5, 0
	v_mad_u64_u32 v[9:10], null, 0xcd9e8d57, v12, 0
	s_delay_alu instid0(VALU_DEP_2) | instskip(NEXT) | instid1(VALU_DEP_2)
	;; [unrolled: 6-line block ×6, first 2 shown]
	v_xor3_b32 v5, v30, v39, v37
	v_xor3_b32 v12, v31, v41, v35
	s_delay_alu instid0(VALU_DEP_2) | instskip(NEXT) | instid1(VALU_DEP_2)
	v_mad_u64_u32 v[9:10], null, 0xcd9e8d57, v5, 0
	v_mad_u64_u32 v[7:8], null, 0xd2511f53, v12, 0
	v_cndmask_b32_e64 v5, v34, s23, vcc_lo
	s_delay_alu instid0(VALU_DEP_3) | instskip(NEXT) | instid1(VALU_DEP_3)
	v_xor3_b32 v10, v10, v40, v0
	v_xor3_b32 v8, v8, v38, v32
	s_delay_alu instid0(VALU_DEP_3)
	v_cmpx_lt_i32_e32 0, v5
	s_cbranch_execz .LBB11_31
; %bb.26:                               ;   in Loop: Header=BB11_9 Depth=2
	s_mov_b32 s39, 0
                                        ; implicit-def: $sgpr40
	s_set_inst_prefetch_distance 0x1
	s_branch .LBB11_28
	.p2align	6
.LBB11_27:                              ;   in Loop: Header=BB11_28 Depth=3
	s_or_b32 exec_lo, exec_lo, s41
	v_dual_mov_b32 v34, v5 :: v_dual_mov_b32 v5, v12
	s_and_b32 s41, exec_lo, s40
	s_delay_alu instid0(SALU_CYCLE_1) | instskip(NEXT) | instid1(SALU_CYCLE_1)
	s_or_b32 s39, s41, s39
	s_and_not1_b32 exec_lo, exec_lo, s39
	s_cbranch_execz .LBB11_30
.LBB11_28:                              ;   Parent Loop BB11_5 Depth=1
                                        ;     Parent Loop BB11_9 Depth=2
                                        ; =>    This Inner Loop Header: Depth=3
	v_lshlrev_b64 v[34:35], 1, v[5:6]
	s_or_b32 s40, s40, exec_lo
	s_delay_alu instid0(VALU_DEP_1) | instskip(NEXT) | instid1(VALU_DEP_2)
	v_add_co_u32 v34, vcc_lo, s31, v34
	v_add_co_ci_u32_e32 v35, vcc_lo, s33, v35, vcc_lo
	global_load_u16 v12, v[34:35], off
	s_waitcnt vmcnt(0)
	v_and_b32_e32 v12, 0x7fff, v12
	s_delay_alu instid0(VALU_DEP_1)
	v_cmp_eq_u16_e32 vcc_lo, 0, v12
                                        ; implicit-def: $vgpr12
	s_and_saveexec_b32 s41, vcc_lo
	s_cbranch_execz .LBB11_27
; %bb.29:                               ;   in Loop: Header=BB11_28 Depth=3
	v_cmp_gt_u32_e32 vcc_lo, 2, v5
	v_dual_mov_b32 v5, 0 :: v_dual_add_nc_u32 v12, -1, v5
	s_and_not1_b32 s40, s40, exec_lo
	s_and_b32 s42, vcc_lo, exec_lo
	s_delay_alu instid0(SALU_CYCLE_1)
	s_or_b32 s40, s40, s42
	s_branch .LBB11_27
.LBB11_30:                              ;   in Loop: Header=BB11_9 Depth=2
	s_set_inst_prefetch_distance 0x2
	s_or_b32 exec_lo, exec_lo, s39
	v_mov_b32_e32 v5, v34
.LBB11_31:                              ;   in Loop: Header=BB11_9 Depth=2
	s_or_b32 exec_lo, exec_lo, s1
	v_ashrrev_i32_e32 v12, 31, v11
	s_delay_alu instid0(VALU_DEP_2) | instskip(SKIP_2) | instid1(VALU_DEP_3)
	v_mov_b32_e32 v36, v5
	v_ashrrev_i32_e32 v37, 31, v5
	s_mov_b32 s39, 0
	v_lshlrev_b64 v[34:35], 3, v[11:12]
	v_add_nc_u32_e32 v11, s25, v11
	s_delay_alu instid0(VALU_DEP_1) | instskip(NEXT) | instid1(VALU_DEP_3)
	v_cmp_le_i32_e64 s1, s20, v11
	v_add_co_u32 v34, vcc_lo, s34, v34
	s_delay_alu instid0(VALU_DEP_4)
	v_add_co_ci_u32_e32 v35, vcc_lo, s36, v35, vcc_lo
	global_store_b64 v[34:35], v[36:37], off
	s_branch .LBB11_8
.LBB11_32:                              ;   in Loop: Header=BB11_5 Depth=1
	s_or_b32 exec_lo, exec_lo, s35
	s_delay_alu instid0(SALU_CYCLE_1)
	s_and_b32 s18, s38, exec_lo
	s_or_not1_b32 s1, s37, exec_lo
.LBB11_33:                              ;   in Loop: Header=BB11_5 Depth=1
	s_or_b32 exec_lo, exec_lo, s28
	s_delay_alu instid0(SALU_CYCLE_1)
	s_and_not1_b32 s19, s27, exec_lo
	s_and_b32 s27, s18, exec_lo
	s_mov_b32 s18, -1
	s_or_b32 s27, s19, s27
	s_and_saveexec_b32 s19, s1
	s_cbranch_execz .LBB11_4
; %bb.34:                               ;   in Loop: Header=BB11_5 Depth=1
	s_load_b32 s1, s[16:17], 0x4
	s_waitcnt lgkmcnt(0)
	s_add_u32 s2, s2, s1
	s_addc_u32 s3, s3, 0
	s_and_not1_b32 s27, s27, exec_lo
	v_cmp_ge_i64_e64 s1, s[2:3], s[6:7]
	s_delay_alu instid0(VALU_DEP_1)
	s_or_not1_b32 s18, s1, exec_lo
	s_branch .LBB11_4
.LBB11_35:
	s_or_b32 exec_lo, exec_lo, s21
	s_and_saveexec_b32 s0, s26
	s_delay_alu instid0(SALU_CYCLE_1)
	s_xor_b32 s0, exec_lo, s0
	s_cbranch_execnz .LBB11_37
.LBB11_36:
	s_nop 0
	s_sendmsg sendmsg(MSG_DEALLOC_VGPRS)
	s_endpgm
.LBB11_37:
	s_cbranch_execnz .LBB11_39
; %bb.38:
	; divergent unreachable
	s_nop 0
	s_sendmsg sendmsg(MSG_DEALLOC_VGPRS)
	s_endpgm
.LBB11_39:
	s_trap 2
	s_sendmsg_rtn_b32 s0, sendmsg(MSG_RTN_GET_DOORBELL)
	s_mov_b32 ttmp2, m0
	s_waitcnt lgkmcnt(0)
	s_and_b32 s0, s0, 0x3ff
	s_delay_alu instid0(SALU_CYCLE_1) | instskip(NEXT) | instid1(SALU_CYCLE_1)
	s_bitset1_b32 s0, 10
	s_mov_b32 m0, s0
	s_sendmsg sendmsg(MSG_INTERRUPT)
	s_mov_b32 m0, ttmp2
.LBB11_40:                              ; =>This Inner Loop Header: Depth=1
	s_sethalt 5
	s_branch .LBB11_40
	.section	.rodata,"a",@progbits
	.p2align	6, 0x0
	.amdhsa_kernel _ZN2at6native12_GLOBAL__N_132sampleMultinomialWithReplacementIN3c108BFloat16EEEvNS_15PhiloxCudaStateEiPlliPKT_S9_
		.amdhsa_group_segment_fixed_size 0
		.amdhsa_private_segment_fixed_size 0
		.amdhsa_kernarg_size 336
		.amdhsa_user_sgpr_count 14
		.amdhsa_user_sgpr_dispatch_ptr 0
		.amdhsa_user_sgpr_queue_ptr 0
		.amdhsa_user_sgpr_kernarg_segment_ptr 1
		.amdhsa_user_sgpr_dispatch_id 0
		.amdhsa_user_sgpr_private_segment_size 0
		.amdhsa_wavefront_size32 1
		.amdhsa_uses_dynamic_stack 0
		.amdhsa_enable_private_segment 0
		.amdhsa_system_sgpr_workgroup_id_x 1
		.amdhsa_system_sgpr_workgroup_id_y 1
		.amdhsa_system_sgpr_workgroup_id_z 0
		.amdhsa_system_sgpr_workgroup_info 0
		.amdhsa_system_vgpr_workitem_id 0
		.amdhsa_next_free_vgpr 42
		.amdhsa_next_free_sgpr 43
		.amdhsa_reserve_vcc 1
		.amdhsa_float_round_mode_32 0
		.amdhsa_float_round_mode_16_64 0
		.amdhsa_float_denorm_mode_32 3
		.amdhsa_float_denorm_mode_16_64 3
		.amdhsa_dx10_clamp 1
		.amdhsa_ieee_mode 1
		.amdhsa_fp16_overflow 0
		.amdhsa_workgroup_processor_mode 1
		.amdhsa_memory_ordered 1
		.amdhsa_forward_progress 0
		.amdhsa_shared_vgpr_count 0
		.amdhsa_exception_fp_ieee_invalid_op 0
		.amdhsa_exception_fp_denorm_src 0
		.amdhsa_exception_fp_ieee_div_zero 0
		.amdhsa_exception_fp_ieee_overflow 0
		.amdhsa_exception_fp_ieee_underflow 0
		.amdhsa_exception_fp_ieee_inexact 0
		.amdhsa_exception_int_div_zero 0
	.end_amdhsa_kernel
	.section	.text._ZN2at6native12_GLOBAL__N_132sampleMultinomialWithReplacementIN3c108BFloat16EEEvNS_15PhiloxCudaStateEiPlliPKT_S9_,"axG",@progbits,_ZN2at6native12_GLOBAL__N_132sampleMultinomialWithReplacementIN3c108BFloat16EEEvNS_15PhiloxCudaStateEiPlliPKT_S9_,comdat
.Lfunc_end11:
	.size	_ZN2at6native12_GLOBAL__N_132sampleMultinomialWithReplacementIN3c108BFloat16EEEvNS_15PhiloxCudaStateEiPlliPKT_S9_, .Lfunc_end11-_ZN2at6native12_GLOBAL__N_132sampleMultinomialWithReplacementIN3c108BFloat16EEEvNS_15PhiloxCudaStateEiPlliPKT_S9_
                                        ; -- End function
	.section	.AMDGPU.csdata,"",@progbits
; Kernel info:
; codeLenInByte = 2500
; NumSgprs: 45
; NumVgprs: 42
; ScratchSize: 0
; MemoryBound: 0
; FloatMode: 240
; IeeeMode: 1
; LDSByteSize: 0 bytes/workgroup (compile time only)
; SGPRBlocks: 5
; VGPRBlocks: 5
; NumSGPRsForWavesPerEU: 45
; NumVGPRsForWavesPerEU: 42
; Occupancy: 16
; WaveLimiterHint : 0
; COMPUTE_PGM_RSRC2:SCRATCH_EN: 0
; COMPUTE_PGM_RSRC2:USER_SGPR: 14
; COMPUTE_PGM_RSRC2:TRAP_HANDLER: 0
; COMPUTE_PGM_RSRC2:TGID_X_EN: 1
; COMPUTE_PGM_RSRC2:TGID_Y_EN: 1
; COMPUTE_PGM_RSRC2:TGID_Z_EN: 0
; COMPUTE_PGM_RSRC2:TIDIG_COMP_CNT: 0
	.text
	.p2alignl 7, 3214868480
	.fill 96, 4, 3214868480
	.type	__hip_cuid_724c8969fcbbc3f8,@object ; @__hip_cuid_724c8969fcbbc3f8
	.section	.bss,"aw",@nobits
	.globl	__hip_cuid_724c8969fcbbc3f8
__hip_cuid_724c8969fcbbc3f8:
	.byte	0                               ; 0x0
	.size	__hip_cuid_724c8969fcbbc3f8, 1

	.ident	"AMD clang version 19.0.0git (https://github.com/RadeonOpenCompute/llvm-project roc-6.4.0 25133 c7fe45cf4b819c5991fe208aaa96edf142730f1d)"
	.section	".note.GNU-stack","",@progbits
	.addrsig
	.addrsig_sym __hip_cuid_724c8969fcbbc3f8
	.amdgpu_metadata
---
amdhsa.kernels:
  - .args:
      - .address_space:  global
        .offset:         0
        .size:           8
        .value_kind:     global_buffer
      - .offset:         8
        .size:           8
        .value_kind:     by_value
      - .offset:         16
        .size:           8
        .value_kind:     by_value
      - .offset:         24
        .size:           4
        .value_kind:     hidden_block_count_x
      - .offset:         28
        .size:           4
        .value_kind:     hidden_block_count_y
      - .offset:         32
        .size:           4
        .value_kind:     hidden_block_count_z
      - .offset:         36
        .size:           2
        .value_kind:     hidden_group_size_x
      - .offset:         38
        .size:           2
        .value_kind:     hidden_group_size_y
      - .offset:         40
        .size:           2
        .value_kind:     hidden_group_size_z
      - .offset:         42
        .size:           2
        .value_kind:     hidden_remainder_x
      - .offset:         44
        .size:           2
        .value_kind:     hidden_remainder_y
      - .offset:         46
        .size:           2
        .value_kind:     hidden_remainder_z
      - .offset:         64
        .size:           8
        .value_kind:     hidden_global_offset_x
      - .offset:         72
        .size:           8
        .value_kind:     hidden_global_offset_y
      - .offset:         80
        .size:           8
        .value_kind:     hidden_global_offset_z
      - .offset:         88
        .size:           2
        .value_kind:     hidden_grid_dims
      - .offset:         144
        .size:           4
        .value_kind:     hidden_dynamic_lds_size
    .group_segment_fixed_size: 0
    .kernarg_segment_align: 8
    .kernarg_segment_size: 280
    .language:       OpenCL C
    .language_version:
      - 2
      - 0
    .max_flat_workgroup_size: 1024
    .name:           _ZN2at6native12_GLOBAL__N_112renormRowsL1IdEEvPT_ll
    .private_segment_fixed_size: 0
    .sgpr_count:     37
    .sgpr_spill_count: 0
    .symbol:         _ZN2at6native12_GLOBAL__N_112renormRowsL1IdEEvPT_ll.kd
    .uniform_work_group_size: 1
    .uses_dynamic_stack: false
    .vgpr_count:     26
    .vgpr_spill_count: 0
    .wavefront_size: 32
    .workgroup_processor_mode: 1
  - .args:
      - .address_space:  global
        .offset:         0
        .size:           8
        .value_kind:     global_buffer
      - .offset:         8
        .size:           8
        .value_kind:     by_value
      - .offset:         16
        .size:           8
        .value_kind:     by_value
      - .offset:         24
        .size:           4
        .value_kind:     hidden_block_count_x
      - .offset:         28
        .size:           4
        .value_kind:     hidden_block_count_y
      - .offset:         32
        .size:           4
        .value_kind:     hidden_block_count_z
      - .offset:         36
        .size:           2
        .value_kind:     hidden_group_size_x
      - .offset:         38
        .size:           2
        .value_kind:     hidden_group_size_y
      - .offset:         40
        .size:           2
        .value_kind:     hidden_group_size_z
      - .offset:         42
        .size:           2
        .value_kind:     hidden_remainder_x
      - .offset:         44
        .size:           2
        .value_kind:     hidden_remainder_y
      - .offset:         46
        .size:           2
        .value_kind:     hidden_remainder_z
      - .offset:         64
        .size:           8
        .value_kind:     hidden_global_offset_x
      - .offset:         72
        .size:           8
        .value_kind:     hidden_global_offset_y
      - .offset:         80
        .size:           8
        .value_kind:     hidden_global_offset_z
      - .offset:         88
        .size:           2
        .value_kind:     hidden_grid_dims
      - .offset:         144
        .size:           4
        .value_kind:     hidden_dynamic_lds_size
    .group_segment_fixed_size: 0
    .kernarg_segment_align: 8
    .kernarg_segment_size: 280
    .language:       OpenCL C
    .language_version:
      - 2
      - 0
    .max_flat_workgroup_size: 1024
    .name:           _ZN2at6native12_GLOBAL__N_112renormRowsL1IfEEvPT_ll
    .private_segment_fixed_size: 0
    .sgpr_count:     37
    .sgpr_spill_count: 0
    .symbol:         _ZN2at6native12_GLOBAL__N_112renormRowsL1IfEEvPT_ll.kd
    .uniform_work_group_size: 1
    .uses_dynamic_stack: false
    .vgpr_count:     20
    .vgpr_spill_count: 0
    .wavefront_size: 32
    .workgroup_processor_mode: 1
  - .args:
      - .address_space:  global
        .offset:         0
        .size:           8
        .value_kind:     global_buffer
      - .offset:         8
        .size:           8
        .value_kind:     by_value
      - .offset:         16
        .size:           8
        .value_kind:     by_value
      - .offset:         24
        .size:           4
        .value_kind:     hidden_block_count_x
      - .offset:         28
        .size:           4
        .value_kind:     hidden_block_count_y
      - .offset:         32
        .size:           4
        .value_kind:     hidden_block_count_z
      - .offset:         36
        .size:           2
        .value_kind:     hidden_group_size_x
      - .offset:         38
        .size:           2
        .value_kind:     hidden_group_size_y
      - .offset:         40
        .size:           2
        .value_kind:     hidden_group_size_z
      - .offset:         42
        .size:           2
        .value_kind:     hidden_remainder_x
      - .offset:         44
        .size:           2
        .value_kind:     hidden_remainder_y
      - .offset:         46
        .size:           2
        .value_kind:     hidden_remainder_z
      - .offset:         64
        .size:           8
        .value_kind:     hidden_global_offset_x
      - .offset:         72
        .size:           8
        .value_kind:     hidden_global_offset_y
      - .offset:         80
        .size:           8
        .value_kind:     hidden_global_offset_z
      - .offset:         88
        .size:           2
        .value_kind:     hidden_grid_dims
      - .offset:         144
        .size:           4
        .value_kind:     hidden_dynamic_lds_size
    .group_segment_fixed_size: 0
    .kernarg_segment_align: 8
    .kernarg_segment_size: 280
    .language:       OpenCL C
    .language_version:
      - 2
      - 0
    .max_flat_workgroup_size: 1024
    .name:           _ZN2at6native12_GLOBAL__N_112renormRowsL1IN3c104HalfEEEvPT_ll
    .private_segment_fixed_size: 0
    .sgpr_count:     38
    .sgpr_spill_count: 0
    .symbol:         _ZN2at6native12_GLOBAL__N_112renormRowsL1IN3c104HalfEEEvPT_ll.kd
    .uniform_work_group_size: 1
    .uses_dynamic_stack: false
    .vgpr_count:     27
    .vgpr_spill_count: 0
    .wavefront_size: 32
    .workgroup_processor_mode: 1
  - .args:
      - .address_space:  global
        .offset:         0
        .size:           8
        .value_kind:     global_buffer
      - .offset:         8
        .size:           8
        .value_kind:     by_value
      - .offset:         16
        .size:           8
        .value_kind:     by_value
      - .offset:         24
        .size:           4
        .value_kind:     hidden_block_count_x
      - .offset:         28
        .size:           4
        .value_kind:     hidden_block_count_y
      - .offset:         32
        .size:           4
        .value_kind:     hidden_block_count_z
      - .offset:         36
        .size:           2
        .value_kind:     hidden_group_size_x
      - .offset:         38
        .size:           2
        .value_kind:     hidden_group_size_y
      - .offset:         40
        .size:           2
        .value_kind:     hidden_group_size_z
      - .offset:         42
        .size:           2
        .value_kind:     hidden_remainder_x
      - .offset:         44
        .size:           2
        .value_kind:     hidden_remainder_y
      - .offset:         46
        .size:           2
        .value_kind:     hidden_remainder_z
      - .offset:         64
        .size:           8
        .value_kind:     hidden_global_offset_x
      - .offset:         72
        .size:           8
        .value_kind:     hidden_global_offset_y
      - .offset:         80
        .size:           8
        .value_kind:     hidden_global_offset_z
      - .offset:         88
        .size:           2
        .value_kind:     hidden_grid_dims
      - .offset:         144
        .size:           4
        .value_kind:     hidden_dynamic_lds_size
    .group_segment_fixed_size: 0
    .kernarg_segment_align: 8
    .kernarg_segment_size: 280
    .language:       OpenCL C
    .language_version:
      - 2
      - 0
    .max_flat_workgroup_size: 1024
    .name:           _ZN2at6native12_GLOBAL__N_112renormRowsL1IN3c108BFloat16EEEvPT_ll
    .private_segment_fixed_size: 0
    .sgpr_count:     38
    .sgpr_spill_count: 0
    .symbol:         _ZN2at6native12_GLOBAL__N_112renormRowsL1IN3c108BFloat16EEEvPT_ll.kd
    .uniform_work_group_size: 1
    .uses_dynamic_stack: false
    .vgpr_count:     29
    .vgpr_spill_count: 0
    .wavefront_size: 32
    .workgroup_processor_mode: 1
  - .args:
      - .address_space:  global
        .offset:         0
        .size:           8
        .value_kind:     global_buffer
      - .offset:         8
        .size:           8
        .value_kind:     by_value
      - .offset:         16
        .size:           4
        .value_kind:     by_value
      - .address_space:  global
        .offset:         24
        .size:           8
        .value_kind:     global_buffer
      - .address_space:  global
        .offset:         32
        .size:           8
        .value_kind:     global_buffer
      - .offset:         40
        .size:           4
        .value_kind:     by_value
      - .offset:         44
        .size:           4
        .value_kind:     by_value
      - .offset:         48
        .size:           4
        .value_kind:     hidden_block_count_x
      - .offset:         52
        .size:           4
        .value_kind:     hidden_block_count_y
      - .offset:         56
        .size:           4
        .value_kind:     hidden_block_count_z
      - .offset:         60
        .size:           2
        .value_kind:     hidden_group_size_x
      - .offset:         62
        .size:           2
        .value_kind:     hidden_group_size_y
      - .offset:         64
        .size:           2
        .value_kind:     hidden_group_size_z
      - .offset:         66
        .size:           2
        .value_kind:     hidden_remainder_x
      - .offset:         68
        .size:           2
        .value_kind:     hidden_remainder_y
      - .offset:         70
        .size:           2
        .value_kind:     hidden_remainder_z
      - .offset:         88
        .size:           8
        .value_kind:     hidden_global_offset_x
      - .offset:         96
        .size:           8
        .value_kind:     hidden_global_offset_y
      - .offset:         104
        .size:           8
        .value_kind:     hidden_global_offset_z
      - .offset:         112
        .size:           2
        .value_kind:     hidden_grid_dims
      - .offset:         168
        .size:           4
        .value_kind:     hidden_dynamic_lds_size
    .group_segment_fixed_size: 8
    .kernarg_segment_align: 8
    .kernarg_segment_size: 304
    .language:       OpenCL C
    .language_version:
      - 2
      - 0
    .max_flat_workgroup_size: 1024
    .name:           _ZN2at6native12_GLOBAL__N_121sampleMultinomialOnceIddEEvPlliPKT_S6_ii
    .private_segment_fixed_size: 0
    .sgpr_count:     65
    .sgpr_spill_count: 0
    .symbol:         _ZN2at6native12_GLOBAL__N_121sampleMultinomialOnceIddEEvPlliPKT_S6_ii.kd
    .uniform_work_group_size: 1
    .uses_dynamic_stack: false
    .vgpr_count:     32
    .vgpr_spill_count: 0
    .wavefront_size: 32
    .workgroup_processor_mode: 1
  - .args:
      - .offset:         0
        .size:           32
        .value_kind:     by_value
      - .offset:         32
        .size:           4
        .value_kind:     by_value
      - .address_space:  global
        .offset:         40
        .size:           8
        .value_kind:     global_buffer
      - .offset:         48
        .size:           8
        .value_kind:     by_value
      - .offset:         56
        .size:           4
        .value_kind:     by_value
      - .address_space:  global
        .offset:         64
        .size:           8
        .value_kind:     global_buffer
      - .address_space:  global
        .offset:         72
        .size:           8
        .value_kind:     global_buffer
      - .offset:         80
        .size:           4
        .value_kind:     hidden_block_count_x
      - .offset:         84
        .size:           4
        .value_kind:     hidden_block_count_y
      - .offset:         88
        .size:           4
        .value_kind:     hidden_block_count_z
      - .offset:         92
        .size:           2
        .value_kind:     hidden_group_size_x
      - .offset:         94
        .size:           2
        .value_kind:     hidden_group_size_y
      - .offset:         96
        .size:           2
        .value_kind:     hidden_group_size_z
      - .offset:         98
        .size:           2
        .value_kind:     hidden_remainder_x
      - .offset:         100
        .size:           2
        .value_kind:     hidden_remainder_y
      - .offset:         102
        .size:           2
        .value_kind:     hidden_remainder_z
      - .offset:         120
        .size:           8
        .value_kind:     hidden_global_offset_x
      - .offset:         128
        .size:           8
        .value_kind:     hidden_global_offset_y
      - .offset:         136
        .size:           8
        .value_kind:     hidden_global_offset_z
      - .offset:         144
        .size:           2
        .value_kind:     hidden_grid_dims
    .group_segment_fixed_size: 0
    .kernarg_segment_align: 8
    .kernarg_segment_size: 336
    .language:       OpenCL C
    .language_version:
      - 2
      - 0
    .max_flat_workgroup_size: 1024
    .name:           _ZN2at6native12_GLOBAL__N_132sampleMultinomialWithReplacementIdEEvNS_15PhiloxCudaStateEiPlliPKT_S7_
    .private_segment_fixed_size: 0
    .sgpr_count:     45
    .sgpr_spill_count: 0
    .symbol:         _ZN2at6native12_GLOBAL__N_132sampleMultinomialWithReplacementIdEEvNS_15PhiloxCudaStateEiPlliPKT_S7_.kd
    .uniform_work_group_size: 1
    .uses_dynamic_stack: false
    .vgpr_count:     42
    .vgpr_spill_count: 0
    .wavefront_size: 32
    .workgroup_processor_mode: 1
  - .args:
      - .address_space:  global
        .offset:         0
        .size:           8
        .value_kind:     global_buffer
      - .offset:         8
        .size:           8
        .value_kind:     by_value
      - .offset:         16
        .size:           4
        .value_kind:     by_value
      - .address_space:  global
        .offset:         24
        .size:           8
        .value_kind:     global_buffer
      - .address_space:  global
        .offset:         32
        .size:           8
        .value_kind:     global_buffer
      - .offset:         40
        .size:           4
        .value_kind:     by_value
      - .offset:         44
        .size:           4
        .value_kind:     by_value
      - .offset:         48
        .size:           4
        .value_kind:     hidden_block_count_x
      - .offset:         52
        .size:           4
        .value_kind:     hidden_block_count_y
      - .offset:         56
        .size:           4
        .value_kind:     hidden_block_count_z
      - .offset:         60
        .size:           2
        .value_kind:     hidden_group_size_x
      - .offset:         62
        .size:           2
        .value_kind:     hidden_group_size_y
      - .offset:         64
        .size:           2
        .value_kind:     hidden_group_size_z
      - .offset:         66
        .size:           2
        .value_kind:     hidden_remainder_x
      - .offset:         68
        .size:           2
        .value_kind:     hidden_remainder_y
      - .offset:         70
        .size:           2
        .value_kind:     hidden_remainder_z
      - .offset:         88
        .size:           8
        .value_kind:     hidden_global_offset_x
      - .offset:         96
        .size:           8
        .value_kind:     hidden_global_offset_y
      - .offset:         104
        .size:           8
        .value_kind:     hidden_global_offset_z
      - .offset:         112
        .size:           2
        .value_kind:     hidden_grid_dims
      - .offset:         168
        .size:           4
        .value_kind:     hidden_dynamic_lds_size
    .group_segment_fixed_size: 8
    .kernarg_segment_align: 8
    .kernarg_segment_size: 304
    .language:       OpenCL C
    .language_version:
      - 2
      - 0
    .max_flat_workgroup_size: 1024
    .name:           _ZN2at6native12_GLOBAL__N_121sampleMultinomialOnceIffEEvPlliPKT_S6_ii
    .private_segment_fixed_size: 0
    .sgpr_count:     65
    .sgpr_spill_count: 0
    .symbol:         _ZN2at6native12_GLOBAL__N_121sampleMultinomialOnceIffEEvPlliPKT_S6_ii.kd
    .uniform_work_group_size: 1
    .uses_dynamic_stack: false
    .vgpr_count:     22
    .vgpr_spill_count: 0
    .wavefront_size: 32
    .workgroup_processor_mode: 1
  - .args:
      - .offset:         0
        .size:           32
        .value_kind:     by_value
      - .offset:         32
        .size:           4
        .value_kind:     by_value
      - .address_space:  global
        .offset:         40
        .size:           8
        .value_kind:     global_buffer
      - .offset:         48
        .size:           8
        .value_kind:     by_value
      - .offset:         56
        .size:           4
        .value_kind:     by_value
      - .address_space:  global
        .offset:         64
        .size:           8
        .value_kind:     global_buffer
      - .address_space:  global
        .offset:         72
        .size:           8
        .value_kind:     global_buffer
      - .offset:         80
        .size:           4
        .value_kind:     hidden_block_count_x
      - .offset:         84
        .size:           4
        .value_kind:     hidden_block_count_y
      - .offset:         88
        .size:           4
        .value_kind:     hidden_block_count_z
      - .offset:         92
        .size:           2
        .value_kind:     hidden_group_size_x
      - .offset:         94
        .size:           2
        .value_kind:     hidden_group_size_y
      - .offset:         96
        .size:           2
        .value_kind:     hidden_group_size_z
      - .offset:         98
        .size:           2
        .value_kind:     hidden_remainder_x
      - .offset:         100
        .size:           2
        .value_kind:     hidden_remainder_y
      - .offset:         102
        .size:           2
        .value_kind:     hidden_remainder_z
      - .offset:         120
        .size:           8
        .value_kind:     hidden_global_offset_x
      - .offset:         128
        .size:           8
        .value_kind:     hidden_global_offset_y
      - .offset:         136
        .size:           8
        .value_kind:     hidden_global_offset_z
      - .offset:         144
        .size:           2
        .value_kind:     hidden_grid_dims
    .group_segment_fixed_size: 0
    .kernarg_segment_align: 8
    .kernarg_segment_size: 336
    .language:       OpenCL C
    .language_version:
      - 2
      - 0
    .max_flat_workgroup_size: 1024
    .name:           _ZN2at6native12_GLOBAL__N_132sampleMultinomialWithReplacementIfEEvNS_15PhiloxCudaStateEiPlliPKT_S7_
    .private_segment_fixed_size: 0
    .sgpr_count:     45
    .sgpr_spill_count: 0
    .symbol:         _ZN2at6native12_GLOBAL__N_132sampleMultinomialWithReplacementIfEEvNS_15PhiloxCudaStateEiPlliPKT_S7_.kd
    .uniform_work_group_size: 1
    .uses_dynamic_stack: false
    .vgpr_count:     42
    .vgpr_spill_count: 0
    .wavefront_size: 32
    .workgroup_processor_mode: 1
  - .args:
      - .address_space:  global
        .offset:         0
        .size:           8
        .value_kind:     global_buffer
      - .offset:         8
        .size:           8
        .value_kind:     by_value
      - .offset:         16
        .size:           4
        .value_kind:     by_value
      - .address_space:  global
        .offset:         24
        .size:           8
        .value_kind:     global_buffer
      - .address_space:  global
        .offset:         32
        .size:           8
        .value_kind:     global_buffer
      - .offset:         40
        .size:           4
        .value_kind:     by_value
      - .offset:         44
        .size:           4
        .value_kind:     by_value
      - .offset:         48
        .size:           4
        .value_kind:     hidden_block_count_x
      - .offset:         52
        .size:           4
        .value_kind:     hidden_block_count_y
      - .offset:         56
        .size:           4
        .value_kind:     hidden_block_count_z
      - .offset:         60
        .size:           2
        .value_kind:     hidden_group_size_x
      - .offset:         62
        .size:           2
        .value_kind:     hidden_group_size_y
      - .offset:         64
        .size:           2
        .value_kind:     hidden_group_size_z
      - .offset:         66
        .size:           2
        .value_kind:     hidden_remainder_x
      - .offset:         68
        .size:           2
        .value_kind:     hidden_remainder_y
      - .offset:         70
        .size:           2
        .value_kind:     hidden_remainder_z
      - .offset:         88
        .size:           8
        .value_kind:     hidden_global_offset_x
      - .offset:         96
        .size:           8
        .value_kind:     hidden_global_offset_y
      - .offset:         104
        .size:           8
        .value_kind:     hidden_global_offset_z
      - .offset:         112
        .size:           2
        .value_kind:     hidden_grid_dims
      - .offset:         168
        .size:           4
        .value_kind:     hidden_dynamic_lds_size
    .group_segment_fixed_size: 8
    .kernarg_segment_align: 8
    .kernarg_segment_size: 304
    .language:       OpenCL C
    .language_version:
      - 2
      - 0
    .max_flat_workgroup_size: 1024
    .name:           _ZN2at6native12_GLOBAL__N_121sampleMultinomialOnceIN3c104HalfEfEEvPlliPKT_S8_ii
    .private_segment_fixed_size: 0
    .sgpr_count:     65
    .sgpr_spill_count: 0
    .symbol:         _ZN2at6native12_GLOBAL__N_121sampleMultinomialOnceIN3c104HalfEfEEvPlliPKT_S8_ii.kd
    .uniform_work_group_size: 1
    .uses_dynamic_stack: false
    .vgpr_count:     22
    .vgpr_spill_count: 0
    .wavefront_size: 32
    .workgroup_processor_mode: 1
  - .args:
      - .offset:         0
        .size:           32
        .value_kind:     by_value
      - .offset:         32
        .size:           4
        .value_kind:     by_value
      - .address_space:  global
        .offset:         40
        .size:           8
        .value_kind:     global_buffer
      - .offset:         48
        .size:           8
        .value_kind:     by_value
      - .offset:         56
        .size:           4
        .value_kind:     by_value
      - .address_space:  global
        .offset:         64
        .size:           8
        .value_kind:     global_buffer
      - .address_space:  global
        .offset:         72
        .size:           8
        .value_kind:     global_buffer
      - .offset:         80
        .size:           4
        .value_kind:     hidden_block_count_x
      - .offset:         84
        .size:           4
        .value_kind:     hidden_block_count_y
      - .offset:         88
        .size:           4
        .value_kind:     hidden_block_count_z
      - .offset:         92
        .size:           2
        .value_kind:     hidden_group_size_x
      - .offset:         94
        .size:           2
        .value_kind:     hidden_group_size_y
      - .offset:         96
        .size:           2
        .value_kind:     hidden_group_size_z
      - .offset:         98
        .size:           2
        .value_kind:     hidden_remainder_x
      - .offset:         100
        .size:           2
        .value_kind:     hidden_remainder_y
      - .offset:         102
        .size:           2
        .value_kind:     hidden_remainder_z
      - .offset:         120
        .size:           8
        .value_kind:     hidden_global_offset_x
      - .offset:         128
        .size:           8
        .value_kind:     hidden_global_offset_y
      - .offset:         136
        .size:           8
        .value_kind:     hidden_global_offset_z
      - .offset:         144
        .size:           2
        .value_kind:     hidden_grid_dims
    .group_segment_fixed_size: 0
    .kernarg_segment_align: 8
    .kernarg_segment_size: 336
    .language:       OpenCL C
    .language_version:
      - 2
      - 0
    .max_flat_workgroup_size: 1024
    .name:           _ZN2at6native12_GLOBAL__N_132sampleMultinomialWithReplacementIN3c104HalfEEEvNS_15PhiloxCudaStateEiPlliPKT_S9_
    .private_segment_fixed_size: 0
    .sgpr_count:     46
    .sgpr_spill_count: 0
    .symbol:         _ZN2at6native12_GLOBAL__N_132sampleMultinomialWithReplacementIN3c104HalfEEEvNS_15PhiloxCudaStateEiPlliPKT_S9_.kd
    .uniform_work_group_size: 1
    .uses_dynamic_stack: false
    .vgpr_count:     42
    .vgpr_spill_count: 0
    .wavefront_size: 32
    .workgroup_processor_mode: 1
  - .args:
      - .address_space:  global
        .offset:         0
        .size:           8
        .value_kind:     global_buffer
      - .offset:         8
        .size:           8
        .value_kind:     by_value
      - .offset:         16
        .size:           4
        .value_kind:     by_value
      - .address_space:  global
        .offset:         24
        .size:           8
        .value_kind:     global_buffer
      - .address_space:  global
        .offset:         32
        .size:           8
        .value_kind:     global_buffer
      - .offset:         40
        .size:           4
        .value_kind:     by_value
      - .offset:         44
        .size:           4
        .value_kind:     by_value
      - .offset:         48
        .size:           4
        .value_kind:     hidden_block_count_x
      - .offset:         52
        .size:           4
        .value_kind:     hidden_block_count_y
      - .offset:         56
        .size:           4
        .value_kind:     hidden_block_count_z
      - .offset:         60
        .size:           2
        .value_kind:     hidden_group_size_x
      - .offset:         62
        .size:           2
        .value_kind:     hidden_group_size_y
      - .offset:         64
        .size:           2
        .value_kind:     hidden_group_size_z
      - .offset:         66
        .size:           2
        .value_kind:     hidden_remainder_x
      - .offset:         68
        .size:           2
        .value_kind:     hidden_remainder_y
      - .offset:         70
        .size:           2
        .value_kind:     hidden_remainder_z
      - .offset:         88
        .size:           8
        .value_kind:     hidden_global_offset_x
      - .offset:         96
        .size:           8
        .value_kind:     hidden_global_offset_y
      - .offset:         104
        .size:           8
        .value_kind:     hidden_global_offset_z
      - .offset:         112
        .size:           2
        .value_kind:     hidden_grid_dims
      - .offset:         168
        .size:           4
        .value_kind:     hidden_dynamic_lds_size
    .group_segment_fixed_size: 8
    .kernarg_segment_align: 8
    .kernarg_segment_size: 304
    .language:       OpenCL C
    .language_version:
      - 2
      - 0
    .max_flat_workgroup_size: 1024
    .name:           _ZN2at6native12_GLOBAL__N_121sampleMultinomialOnceIN3c108BFloat16EfEEvPlliPKT_S8_ii
    .private_segment_fixed_size: 0
    .sgpr_count:     65
    .sgpr_spill_count: 0
    .symbol:         _ZN2at6native12_GLOBAL__N_121sampleMultinomialOnceIN3c108BFloat16EfEEvPlliPKT_S8_ii.kd
    .uniform_work_group_size: 1
    .uses_dynamic_stack: false
    .vgpr_count:     22
    .vgpr_spill_count: 0
    .wavefront_size: 32
    .workgroup_processor_mode: 1
  - .args:
      - .offset:         0
        .size:           32
        .value_kind:     by_value
      - .offset:         32
        .size:           4
        .value_kind:     by_value
      - .address_space:  global
        .offset:         40
        .size:           8
        .value_kind:     global_buffer
      - .offset:         48
        .size:           8
        .value_kind:     by_value
      - .offset:         56
        .size:           4
        .value_kind:     by_value
      - .address_space:  global
        .offset:         64
        .size:           8
        .value_kind:     global_buffer
      - .address_space:  global
        .offset:         72
        .size:           8
        .value_kind:     global_buffer
      - .offset:         80
        .size:           4
        .value_kind:     hidden_block_count_x
      - .offset:         84
        .size:           4
        .value_kind:     hidden_block_count_y
      - .offset:         88
        .size:           4
        .value_kind:     hidden_block_count_z
      - .offset:         92
        .size:           2
        .value_kind:     hidden_group_size_x
      - .offset:         94
        .size:           2
        .value_kind:     hidden_group_size_y
      - .offset:         96
        .size:           2
        .value_kind:     hidden_group_size_z
      - .offset:         98
        .size:           2
        .value_kind:     hidden_remainder_x
      - .offset:         100
        .size:           2
        .value_kind:     hidden_remainder_y
      - .offset:         102
        .size:           2
        .value_kind:     hidden_remainder_z
      - .offset:         120
        .size:           8
        .value_kind:     hidden_global_offset_x
      - .offset:         128
        .size:           8
        .value_kind:     hidden_global_offset_y
      - .offset:         136
        .size:           8
        .value_kind:     hidden_global_offset_z
      - .offset:         144
        .size:           2
        .value_kind:     hidden_grid_dims
    .group_segment_fixed_size: 0
    .kernarg_segment_align: 8
    .kernarg_segment_size: 336
    .language:       OpenCL C
    .language_version:
      - 2
      - 0
    .max_flat_workgroup_size: 1024
    .name:           _ZN2at6native12_GLOBAL__N_132sampleMultinomialWithReplacementIN3c108BFloat16EEEvNS_15PhiloxCudaStateEiPlliPKT_S9_
    .private_segment_fixed_size: 0
    .sgpr_count:     45
    .sgpr_spill_count: 0
    .symbol:         _ZN2at6native12_GLOBAL__N_132sampleMultinomialWithReplacementIN3c108BFloat16EEEvNS_15PhiloxCudaStateEiPlliPKT_S9_.kd
    .uniform_work_group_size: 1
    .uses_dynamic_stack: false
    .vgpr_count:     42
    .vgpr_spill_count: 0
    .wavefront_size: 32
    .workgroup_processor_mode: 1
amdhsa.target:   amdgcn-amd-amdhsa--gfx1100
amdhsa.version:
  - 1
  - 2
...

	.end_amdgpu_metadata
